;; amdgpu-corpus repo=ROCm/rocFFT kind=compiled arch=gfx950 opt=O3
	.text
	.amdgcn_target "amdgcn-amd-amdhsa--gfx950"
	.amdhsa_code_object_version 6
	.protected	fft_rtc_back_len1352_factors_2_13_13_4_wgs_52_tpt_52_halfLds_sp_op_CI_CI_unitstride_sbrr_C2R_dirReg ; -- Begin function fft_rtc_back_len1352_factors_2_13_13_4_wgs_52_tpt_52_halfLds_sp_op_CI_CI_unitstride_sbrr_C2R_dirReg
	.globl	fft_rtc_back_len1352_factors_2_13_13_4_wgs_52_tpt_52_halfLds_sp_op_CI_CI_unitstride_sbrr_C2R_dirReg
	.p2align	8
	.type	fft_rtc_back_len1352_factors_2_13_13_4_wgs_52_tpt_52_halfLds_sp_op_CI_CI_unitstride_sbrr_C2R_dirReg,@function
fft_rtc_back_len1352_factors_2_13_13_4_wgs_52_tpt_52_halfLds_sp_op_CI_CI_unitstride_sbrr_C2R_dirReg: ; @fft_rtc_back_len1352_factors_2_13_13_4_wgs_52_tpt_52_halfLds_sp_op_CI_CI_unitstride_sbrr_C2R_dirReg
; %bb.0:
	s_load_dwordx4 s[4:7], s[0:1], 0x58
	s_load_dwordx4 s[8:11], s[0:1], 0x0
	;; [unrolled: 1-line block ×3, first 2 shown]
	v_mul_u32_u24_e32 v1, 0x4ed, v0
	v_add_u32_sdwa v6, s2, v1 dst_sel:DWORD dst_unused:UNUSED_PAD src0_sel:DWORD src1_sel:WORD_1
	v_mov_b32_e32 v4, 0
	s_waitcnt lgkmcnt(0)
	v_cmp_lt_u64_e64 s[2:3], s[10:11], 2
	v_mov_b32_e32 v7, v4
	s_and_b64 vcc, exec, s[2:3]
	v_mov_b64_e32 v[2:3], 0
	s_cbranch_vccnz .LBB0_8
; %bb.1:
	s_load_dwordx2 s[2:3], s[0:1], 0x10
	s_add_u32 s16, s14, 8
	s_addc_u32 s17, s15, 0
	s_add_u32 s18, s12, 8
	s_addc_u32 s19, s13, 0
	s_waitcnt lgkmcnt(0)
	s_add_u32 s20, s2, 8
	v_mov_b64_e32 v[2:3], 0
	s_addc_u32 s21, s3, 0
	s_mov_b64 s[22:23], 1
	v_mov_b64_e32 v[48:49], v[2:3]
.LBB0_2:                                ; =>This Inner Loop Header: Depth=1
	s_load_dwordx2 s[24:25], s[20:21], 0x0
                                        ; implicit-def: $vgpr52_vgpr53
	s_waitcnt lgkmcnt(0)
	v_or_b32_e32 v5, s25, v7
	v_cmp_ne_u64_e32 vcc, 0, v[4:5]
	s_and_saveexec_b64 s[2:3], vcc
	s_xor_b64 s[26:27], exec, s[2:3]
	s_cbranch_execz .LBB0_4
; %bb.3:                                ;   in Loop: Header=BB0_2 Depth=1
	v_cvt_f32_u32_e32 v1, s24
	v_cvt_f32_u32_e32 v5, s25
	s_sub_u32 s2, 0, s24
	s_subb_u32 s3, 0, s25
	v_fmac_f32_e32 v1, 0x4f800000, v5
	v_rcp_f32_e32 v1, v1
	s_nop 0
	v_mul_f32_e32 v1, 0x5f7ffffc, v1
	v_mul_f32_e32 v5, 0x2f800000, v1
	v_trunc_f32_e32 v5, v5
	v_fmac_f32_e32 v1, 0xcf800000, v5
	v_cvt_u32_f32_e32 v5, v5
	v_cvt_u32_f32_e32 v1, v1
	v_mul_lo_u32 v8, s2, v5
	v_mul_hi_u32 v10, s2, v1
	v_mul_lo_u32 v9, s3, v1
	v_add_u32_e32 v10, v10, v8
	v_mul_lo_u32 v12, s2, v1
	v_add_u32_e32 v13, v10, v9
	v_mul_hi_u32 v8, v1, v12
	v_mul_hi_u32 v11, v1, v13
	v_mul_lo_u32 v10, v1, v13
	v_mov_b32_e32 v9, v4
	v_lshl_add_u64 v[8:9], v[8:9], 0, v[10:11]
	v_mul_hi_u32 v11, v5, v12
	v_mul_lo_u32 v12, v5, v12
	v_add_co_u32_e32 v8, vcc, v8, v12
	v_mul_hi_u32 v10, v5, v13
	s_nop 0
	v_addc_co_u32_e32 v8, vcc, v9, v11, vcc
	v_mov_b32_e32 v9, v4
	s_nop 0
	v_addc_co_u32_e32 v11, vcc, 0, v10, vcc
	v_mul_lo_u32 v10, v5, v13
	v_lshl_add_u64 v[8:9], v[8:9], 0, v[10:11]
	v_add_co_u32_e32 v1, vcc, v1, v8
	v_mul_lo_u32 v10, s2, v1
	s_nop 0
	v_addc_co_u32_e32 v5, vcc, v5, v9, vcc
	v_mul_lo_u32 v8, s2, v5
	v_mul_hi_u32 v9, s2, v1
	v_add_u32_e32 v8, v9, v8
	v_mul_lo_u32 v9, s3, v1
	v_add_u32_e32 v12, v8, v9
	v_mul_hi_u32 v14, v5, v10
	v_mul_lo_u32 v15, v5, v10
	v_mul_hi_u32 v9, v1, v12
	v_mul_lo_u32 v8, v1, v12
	v_mul_hi_u32 v10, v1, v10
	v_mov_b32_e32 v11, v4
	v_lshl_add_u64 v[8:9], v[10:11], 0, v[8:9]
	v_add_co_u32_e32 v8, vcc, v8, v15
	v_mul_hi_u32 v13, v5, v12
	s_nop 0
	v_addc_co_u32_e32 v8, vcc, v9, v14, vcc
	v_mul_lo_u32 v10, v5, v12
	s_nop 0
	v_addc_co_u32_e32 v11, vcc, 0, v13, vcc
	v_mov_b32_e32 v9, v4
	v_lshl_add_u64 v[8:9], v[8:9], 0, v[10:11]
	v_add_co_u32_e32 v1, vcc, v1, v8
	v_mul_hi_u32 v10, v6, v1
	s_nop 0
	v_addc_co_u32_e32 v5, vcc, v5, v9, vcc
	v_mad_u64_u32 v[8:9], s[2:3], v6, v5, 0
	v_mov_b32_e32 v11, v4
	v_lshl_add_u64 v[8:9], v[10:11], 0, v[8:9]
	v_mad_u64_u32 v[12:13], s[2:3], v7, v1, 0
	v_add_co_u32_e32 v1, vcc, v8, v12
	v_mad_u64_u32 v[10:11], s[2:3], v7, v5, 0
	s_nop 0
	v_addc_co_u32_e32 v8, vcc, v9, v13, vcc
	v_mov_b32_e32 v9, v4
	s_nop 0
	v_addc_co_u32_e32 v11, vcc, 0, v11, vcc
	v_lshl_add_u64 v[8:9], v[8:9], 0, v[10:11]
	v_mul_lo_u32 v1, s25, v8
	v_mul_lo_u32 v5, s24, v9
	v_mad_u64_u32 v[10:11], s[2:3], s24, v8, 0
	v_add3_u32 v1, v11, v5, v1
	v_sub_u32_e32 v5, v7, v1
	v_mov_b32_e32 v11, s25
	v_sub_co_u32_e32 v14, vcc, v6, v10
	v_lshl_add_u64 v[12:13], v[8:9], 0, 1
	s_nop 0
	v_subb_co_u32_e64 v5, s[2:3], v5, v11, vcc
	v_subrev_co_u32_e64 v10, s[2:3], s24, v14
	v_subb_co_u32_e32 v1, vcc, v7, v1, vcc
	s_nop 0
	v_subbrev_co_u32_e64 v5, s[2:3], 0, v5, s[2:3]
	v_cmp_le_u32_e64 s[2:3], s25, v5
	v_cmp_le_u32_e32 vcc, s25, v1
	s_nop 0
	v_cndmask_b32_e64 v11, 0, -1, s[2:3]
	v_cmp_le_u32_e64 s[2:3], s24, v10
	s_nop 1
	v_cndmask_b32_e64 v10, 0, -1, s[2:3]
	v_cmp_eq_u32_e64 s[2:3], s25, v5
	s_nop 1
	v_cndmask_b32_e64 v5, v11, v10, s[2:3]
	v_lshl_add_u64 v[10:11], v[8:9], 0, 2
	v_cmp_ne_u32_e64 s[2:3], 0, v5
	s_nop 1
	v_cndmask_b32_e64 v5, v13, v11, s[2:3]
	v_cndmask_b32_e64 v11, 0, -1, vcc
	v_cmp_le_u32_e32 vcc, s24, v14
	s_nop 1
	v_cndmask_b32_e64 v13, 0, -1, vcc
	v_cmp_eq_u32_e32 vcc, s25, v1
	s_nop 1
	v_cndmask_b32_e32 v1, v11, v13, vcc
	v_cmp_ne_u32_e32 vcc, 0, v1
	v_cndmask_b32_e64 v1, v12, v10, s[2:3]
	s_nop 0
	v_cndmask_b32_e32 v53, v9, v5, vcc
	v_cndmask_b32_e32 v52, v8, v1, vcc
.LBB0_4:                                ;   in Loop: Header=BB0_2 Depth=1
	s_andn2_saveexec_b64 s[2:3], s[26:27]
	s_cbranch_execz .LBB0_6
; %bb.5:                                ;   in Loop: Header=BB0_2 Depth=1
	v_cvt_f32_u32_e32 v1, s24
	s_sub_i32 s26, 0, s24
	v_mov_b32_e32 v53, v4
	v_rcp_iflag_f32_e32 v1, v1
	s_nop 0
	v_mul_f32_e32 v1, 0x4f7ffffe, v1
	v_cvt_u32_f32_e32 v1, v1
	v_mul_lo_u32 v5, s26, v1
	v_mul_hi_u32 v5, v1, v5
	v_add_u32_e32 v1, v1, v5
	v_mul_hi_u32 v1, v6, v1
	v_mul_lo_u32 v5, v1, s24
	v_sub_u32_e32 v5, v6, v5
	v_add_u32_e32 v8, 1, v1
	v_subrev_u32_e32 v9, s24, v5
	v_cmp_le_u32_e32 vcc, s24, v5
	s_nop 1
	v_cndmask_b32_e32 v5, v5, v9, vcc
	v_cndmask_b32_e32 v1, v1, v8, vcc
	v_add_u32_e32 v8, 1, v1
	v_cmp_le_u32_e32 vcc, s24, v5
	s_nop 1
	v_cndmask_b32_e32 v52, v1, v8, vcc
.LBB0_6:                                ;   in Loop: Header=BB0_2 Depth=1
	s_or_b64 exec, exec, s[2:3]
	v_mad_u64_u32 v[8:9], s[2:3], v52, s24, 0
	s_load_dwordx2 s[2:3], s[18:19], 0x0
	v_mul_lo_u32 v1, v53, s24
	v_mul_lo_u32 v5, v52, s25
	s_load_dwordx2 s[24:25], s[16:17], 0x0
	s_add_u32 s22, s22, 1
	v_add3_u32 v1, v9, v5, v1
	v_sub_co_u32_e32 v5, vcc, v6, v8
	s_addc_u32 s23, s23, 0
	s_nop 0
	v_subb_co_u32_e32 v1, vcc, v7, v1, vcc
	s_add_u32 s16, s16, 8
	s_waitcnt lgkmcnt(0)
	v_mul_lo_u32 v6, s2, v1
	v_mul_lo_u32 v7, s3, v5
	v_mad_u64_u32 v[2:3], s[2:3], s2, v5, v[2:3]
	s_addc_u32 s17, s17, 0
	v_add3_u32 v3, v7, v3, v6
	v_mul_lo_u32 v1, s24, v1
	v_mul_lo_u32 v6, s25, v5
	v_mad_u64_u32 v[48:49], s[2:3], s24, v5, v[48:49]
	s_add_u32 s18, s18, 8
	v_add3_u32 v49, v6, v49, v1
	s_addc_u32 s19, s19, 0
	v_mov_b64_e32 v[6:7], s[10:11]
	s_add_u32 s20, s20, 8
	v_cmp_ge_u64_e32 vcc, s[22:23], v[6:7]
	s_addc_u32 s21, s21, 0
	s_cbranch_vccnz .LBB0_9
; %bb.7:                                ;   in Loop: Header=BB0_2 Depth=1
	v_mov_b64_e32 v[6:7], v[52:53]
	s_branch .LBB0_2
.LBB0_8:
	v_mov_b64_e32 v[48:49], v[2:3]
	v_mov_b64_e32 v[52:53], v[6:7]
.LBB0_9:
	s_load_dwordx2 s[2:3], s[0:1], 0x28
	s_lshl_b64 s[16:17], s[10:11], 3
	s_add_u32 s10, s14, s16
	s_addc_u32 s11, s15, s17
                                        ; implicit-def: $vgpr50
	s_waitcnt lgkmcnt(0)
	v_cmp_gt_u64_e64 s[0:1], s[2:3], v[52:53]
	v_cmp_le_u64_e32 vcc, s[2:3], v[52:53]
	s_and_saveexec_b64 s[2:3], vcc
	s_xor_b64 s[2:3], exec, s[2:3]
; %bb.10:
	s_mov_b32 s14, 0x4ec4ec5
	v_mul_hi_u32 v1, v0, s14
	v_mul_u32_u24_e32 v1, 52, v1
	v_sub_u32_e32 v50, v0, v1
                                        ; implicit-def: $vgpr0
                                        ; implicit-def: $vgpr2_vgpr3
; %bb.11:
	s_or_saveexec_b64 s[2:3], s[2:3]
	s_load_dwordx2 s[10:11], s[10:11], 0x0
	s_xor_b64 exec, exec, s[2:3]
	s_cbranch_execz .LBB0_15
; %bb.12:
	s_add_u32 s12, s12, s16
	s_addc_u32 s13, s13, s17
	s_load_dwordx2 s[12:13], s[12:13], 0x0
	s_mov_b32 s14, 0x4ec4ec5
	s_waitcnt lgkmcnt(0)
	v_mul_lo_u32 v1, s13, v52
	v_mul_lo_u32 v6, s12, v53
	v_mad_u64_u32 v[4:5], s[12:13], s12, v52, 0
	v_add3_u32 v5, v5, v6, v1
	v_mul_hi_u32 v1, v0, s14
	v_mul_u32_u24_e32 v1, 52, v1
	v_sub_u32_e32 v50, v0, v1
	v_lshl_add_u64 v[0:1], v[4:5], 3, s[4:5]
	v_lshl_add_u64 v[2:3], v[2:3], 3, v[0:1]
	v_lshlrev_b32_e32 v0, 3, v50
	v_mov_b32_e32 v1, 0
	v_lshl_add_u64 v[4:5], v[2:3], 0, v[0:1]
	s_movk_i32 s4, 0x1000
	v_add_co_u32_e32 v22, vcc, s4, v4
	s_movk_i32 s5, 0x2000
	v_add_u32_e32 v51, 0, v0
	v_or_b32_e32 v0, 0x1a00, v0
	v_addc_co_u32_e32 v23, vcc, 0, v5, vcc
	v_lshl_add_u64 v[24:25], v[2:3], 0, v[0:1]
	v_add_co_u32_e32 v26, vcc, s5, v4
	global_load_dwordx2 v[6:7], v[4:5], off
	global_load_dwordx2 v[8:9], v[4:5], off offset:416
	global_load_dwordx2 v[10:11], v[4:5], off offset:832
	;; [unrolled: 1-line block ×7, first 2 shown]
	v_addc_co_u32_e32 v27, vcc, 0, v5, vcc
	global_load_dwordx2 v[28:29], v[4:5], off offset:3328
	global_load_dwordx2 v[30:31], v[4:5], off offset:3744
	;; [unrolled: 1-line block ×10, first 2 shown]
	global_load_dwordx2 v[54:55], v[24:25], off
	global_load_dwordx2 v[56:57], v[22:23], off offset:3808
	global_load_dwordx2 v[58:59], v[26:27], off offset:128
	;; [unrolled: 1-line block ×4, first 2 shown]
                                        ; kill: killed $vgpr4 killed $vgpr5
                                        ; kill: killed $vgpr22 killed $vgpr23
                                        ; kill: killed $vgpr24_vgpr25
	global_load_dwordx2 v[4:5], v[26:27], off offset:1376
	s_nop 0
	global_load_dwordx2 v[22:23], v[26:27], off offset:1792
	global_load_dwordx2 v[24:25], v[26:27], off offset:2208
	v_cmp_eq_u32_e32 vcc, 51, v50
	v_add_u32_e32 v0, 0x400, v51
	v_add_u32_e32 v26, 0x800, v51
	;; [unrolled: 1-line block ×7, first 2 shown]
	s_waitcnt vmcnt(24)
	ds_write2_b64 v51, v[6:7], v[8:9] offset1:52
	s_waitcnt vmcnt(22)
	ds_write2_b64 v51, v[10:11], v[12:13] offset0:104 offset1:156
	s_waitcnt vmcnt(20)
	ds_write2_b64 v0, v[14:15], v[16:17] offset0:80 offset1:132
	s_waitcnt vmcnt(18)
	ds_write2_b64 v26, v[18:19], v[20:21] offset0:56 offset1:108
	s_waitcnt vmcnt(16)
	ds_write2_b64 v26, v[28:29], v[30:31] offset0:160 offset1:212
	s_waitcnt vmcnt(14)
	ds_write2_b64 v27, v[32:33], v[34:35] offset0:8 offset1:60
	s_waitcnt vmcnt(12)
	ds_write2_b64 v27, v[36:37], v[38:39] offset0:112 offset1:164
	s_waitcnt vmcnt(10)
	ds_write2_b64 v64, v[40:41], v[42:43] offset0:88 offset1:140
	s_waitcnt vmcnt(7)
	ds_write2_b64 v65, v[54:55], v[44:45] offset0:64 offset1:116
	s_waitcnt vmcnt(6)
	ds_write2_b64 v65, v[46:47], v[56:57] offset0:168 offset1:220
	s_waitcnt vmcnt(4)
	ds_write2_b64 v66, v[58:59], v[60:61] offset0:16 offset1:68
	s_waitcnt vmcnt(2)
	ds_write2_b64 v66, v[62:63], v[4:5] offset0:120 offset1:172
	s_waitcnt vmcnt(0)
	ds_write2_b64 v67, v[22:23], v[24:25] offset0:96 offset1:148
	s_and_saveexec_b64 s[4:5], vcc
	s_cbranch_execz .LBB0_14
; %bb.13:
	v_add_co_u32_e32 v2, vcc, 0x2000, v2
	v_mov_b32_e32 v50, 51
	s_nop 0
	v_addc_co_u32_e32 v3, vcc, 0, v3, vcc
	global_load_dwordx2 v[2:3], v[2:3], off offset:2624
	s_waitcnt vmcnt(0)
	ds_write_b64 v1, v[2:3] offset:10816
.LBB0_14:
	s_or_b64 exec, exec, s[4:5]
.LBB0_15:
	s_or_b64 exec, exec, s[2:3]
	v_lshlrev_b32_e32 v0, 3, v50
	v_add_u32_e32 v102, 0, v0
	s_waitcnt lgkmcnt(0)
	; wave barrier
	s_waitcnt lgkmcnt(0)
	v_sub_u32_e32 v4, 0, v0
	ds_read_b32 v0, v102
	ds_read_b32 v1, v4 offset:10816
	s_add_u32 s2, s8, 0x2a30
	s_addc_u32 s3, s9, 0
	v_cmp_ne_u32_e32 vcc, 0, v50
	s_waitcnt lgkmcnt(0)
	v_add_f32_e32 v2, v1, v0
	v_sub_f32_e32 v3, v0, v1
                                        ; implicit-def: $vgpr0_vgpr1
	s_and_saveexec_b64 s[4:5], vcc
	s_xor_b64 s[4:5], exec, s[4:5]
	s_cbranch_execz .LBB0_17
; %bb.16:
	v_mov_b32_e32 v51, 0
	v_lshl_add_u64 v[0:1], v[50:51], 3, s[2:3]
	global_load_dwordx2 v[6:7], v[0:1], off
	ds_read_b32 v5, v4 offset:10820
	ds_read_b32 v11, v102 offset:4
	v_mov_b32_e32 v8, v3
	v_mov_b32_e32 v10, v2
	;; [unrolled: 1-line block ×3, first 2 shown]
	v_mov_b64_e32 v[0:1], v[50:51]
	s_waitcnt lgkmcnt(0)
	v_add_f32_e32 v9, v5, v11
	v_sub_f32_e32 v11, v11, v5
	v_mov_b32_e32 v12, v9
	s_waitcnt vmcnt(0)
	v_pk_mul_f32 v[14:15], v[8:9], v[6:7] op_sel:[0,1]
	v_pk_fma_f32 v[8:9], v[8:9], v[6:7], v[10:11] op_sel:[0,1,0]
	v_mov_b32_e32 v3, v15
	v_mov_b32_e32 v15, v11
	v_pk_fma_f32 v[16:17], v[6:7], v[12:13], v[8:9] neg_lo:[1,0,0] neg_hi:[1,0,0]
	v_pk_fma_f32 v[8:9], v[6:7], v[12:13], v[8:9] op_sel_hi:[0,1,1]
	v_pk_add_f32 v[2:3], v[2:3], v[14:15] neg_lo:[0,1] neg_hi:[0,1]
	v_mov_b32_e32 v17, v9
	v_pk_fma_f32 v[2:3], v[6:7], v[12:13], v[2:3] op_sel_hi:[0,1,1]
	ds_write_b64 v4, v[2:3] offset:10816
	v_mov_b64_e32 v[2:3], v[16:17]
.LBB0_17:
	s_andn2_saveexec_b64 s[4:5], s[4:5]
	s_cbranch_execz .LBB0_19
; %bb.18:
	v_mov_b32_e32 v5, 0
	ds_read_b64 v[0:1], v5 offset:5408
	s_mov_b32 s12, 2.0
	s_mov_b32 s13, -2.0
	s_waitcnt lgkmcnt(0)
	v_pk_mul_f32 v[0:1], v[0:1], s[12:13]
	ds_write_b64 v5, v[0:1] offset:5408
	v_mov_b64_e32 v[0:1], 0
.LBB0_19:
	s_or_b64 exec, exec, s[4:5]
	v_lshl_add_u64 v[0:1], v[0:1], 3, s[2:3]
	global_load_dwordx2 v[6:7], v[0:1], off offset:416
	global_load_dwordx2 v[8:9], v[0:1], off offset:832
	;; [unrolled: 1-line block ×4, first 2 shown]
	ds_write_b64 v102, v[2:3]
	ds_read_b64 v[2:3], v102 offset:416
	ds_read_b64 v[14:15], v4 offset:10400
	global_load_dwordx2 v[16:17], v[0:1], off offset:2080
	s_movk_i32 s33, 0x1000
	v_add_u32_e32 v51, 0x1000, v102
	v_add_u32_e32 v108, 0x1400, v102
	s_waitcnt lgkmcnt(0)
	v_pk_add_f32 v[18:19], v[2:3], v[14:15]
	v_pk_add_f32 v[2:3], v[2:3], v[14:15] neg_lo:[0,1] neg_hi:[0,1]
	v_mov_b32_e32 v14, v19
	v_mov_b32_e32 v15, v2
	;; [unrolled: 1-line block ×3, first 2 shown]
	v_add_u32_e32 v103, 0x1800, v102
	v_add_u32_e32 v104, 0x400, v102
	;; [unrolled: 1-line block ×6, first 2 shown]
	v_lshl_add_u32 v58, v110, 4, 0
	v_add_u32_e32 v107, 0x138, v50
	v_and_b32_e32 v111, 1, v50
	s_mov_b32 s46, 0xbeedf032
	s_mov_b32 s12, 0x3f62ad3f
	;; [unrolled: 1-line block ×18, first 2 shown]
	s_movk_i32 s2, 0x4f
	s_mov_b32 s48, s18
	s_mov_b32 s49, s26
	s_waitcnt vmcnt(4)
	v_pk_mul_f32 v[20:21], v[14:15], v[6:7] op_sel:[0,1]
	s_nop 0
	v_pk_add_f32 v[22:23], v[18:19], v[20:21] op_sel:[0,1] op_sel_hi:[1,0]
	v_mov_b32_e32 v19, v20
	v_mov_b32_e32 v2, v21
	v_pk_fma_f32 v[20:21], v[6:7], v[14:15], v[22:23] neg_lo:[1,0,0] neg_hi:[1,0,0]
	v_pk_fma_f32 v[22:23], v[6:7], v[14:15], v[22:23] op_sel_hi:[0,1,1]
	v_pk_add_f32 v[2:3], v[18:19], v[2:3] neg_lo:[0,1] neg_hi:[0,1]
	v_mov_b32_e32 v21, v23
	v_pk_fma_f32 v[2:3], v[6:7], v[14:15], v[2:3] op_sel_hi:[0,1,1]
	ds_write_b64 v102, v[20:21] offset:416
	ds_write_b64 v4, v[2:3] offset:10400
	ds_read_b64 v[2:3], v4 offset:9984
	ds_read_b64 v[6:7], v102 offset:832
	global_load_dwordx2 v[14:15], v[0:1], off offset:2496
	s_waitcnt lgkmcnt(0)
	v_pk_add_f32 v[18:19], v[6:7], v[2:3]
	v_pk_add_f32 v[2:3], v[6:7], v[2:3] neg_lo:[0,1] neg_hi:[0,1]
	v_mov_b32_e32 v6, v19
	v_mov_b32_e32 v7, v2
	v_mov_b32_e32 v19, v3
	s_waitcnt vmcnt(4)
	v_pk_mul_f32 v[20:21], v[6:7], v[8:9] op_sel:[0,1]
	s_nop 0
	v_pk_add_f32 v[22:23], v[18:19], v[20:21] op_sel:[0,1] op_sel_hi:[1,0]
	v_mov_b32_e32 v19, v20
	v_mov_b32_e32 v2, v21
	v_pk_fma_f32 v[20:21], v[8:9], v[6:7], v[22:23] neg_lo:[1,0,0] neg_hi:[1,0,0]
	v_pk_fma_f32 v[22:23], v[8:9], v[6:7], v[22:23] op_sel_hi:[0,1,1]
	v_pk_add_f32 v[2:3], v[18:19], v[2:3] neg_lo:[0,1] neg_hi:[0,1]
	v_mov_b32_e32 v21, v23
	v_pk_fma_f32 v[2:3], v[8:9], v[6:7], v[2:3] op_sel_hi:[0,1,1]
	ds_write_b64 v102, v[20:21] offset:832
	ds_write_b64 v4, v[2:3] offset:9984
	ds_read_b64 v[2:3], v4 offset:9568
	ds_read_b64 v[6:7], v102 offset:1248
	global_load_dwordx2 v[8:9], v[0:1], off offset:2912
	s_waitcnt lgkmcnt(0)
	v_pk_add_f32 v[18:19], v[6:7], v[2:3]
	v_pk_add_f32 v[2:3], v[6:7], v[2:3] neg_lo:[0,1] neg_hi:[0,1]
	v_mov_b32_e32 v6, v19
	v_mov_b32_e32 v7, v2
	v_mov_b32_e32 v19, v3
	;; [unrolled: 22-line block ×3, first 2 shown]
	s_waitcnt vmcnt(4)
	v_pk_mul_f32 v[20:21], v[6:7], v[12:13] op_sel:[0,1]
	s_nop 0
	v_pk_add_f32 v[22:23], v[18:19], v[20:21] op_sel:[0,1] op_sel_hi:[1,0]
	v_mov_b32_e32 v19, v20
	v_mov_b32_e32 v2, v21
	v_pk_fma_f32 v[20:21], v[12:13], v[6:7], v[22:23] neg_lo:[1,0,0] neg_hi:[1,0,0]
	v_pk_fma_f32 v[22:23], v[12:13], v[6:7], v[22:23] op_sel_hi:[0,1,1]
	v_pk_add_f32 v[2:3], v[18:19], v[2:3] neg_lo:[0,1] neg_hi:[0,1]
	v_mov_b32_e32 v21, v23
	v_pk_fma_f32 v[2:3], v[12:13], v[6:7], v[2:3] op_sel_hi:[0,1,1]
	ds_write_b64 v102, v[20:21] offset:1664
	ds_write_b64 v4, v[2:3] offset:9152
	ds_read_b64 v[2:3], v4 offset:8736
	ds_read_b64 v[6:7], v102 offset:2080
	global_load_dwordx2 v[12:13], v[0:1], off offset:3744
	v_add_co_u32_e32 v0, vcc, s33, v0
	s_waitcnt lgkmcnt(0)
	v_pk_add_f32 v[18:19], v[6:7], v[2:3]
	v_pk_add_f32 v[2:3], v[6:7], v[2:3] neg_lo:[0,1] neg_hi:[0,1]
	v_mov_b32_e32 v6, v19
	v_mov_b32_e32 v7, v2
	;; [unrolled: 1-line block ×3, first 2 shown]
	s_waitcnt vmcnt(4)
	v_pk_mul_f32 v[20:21], v[6:7], v[16:17] op_sel:[0,1]
	v_addc_co_u32_e32 v1, vcc, 0, v1, vcc
	v_pk_add_f32 v[22:23], v[18:19], v[20:21] op_sel:[0,1] op_sel_hi:[1,0]
	v_mov_b32_e32 v19, v20
	v_mov_b32_e32 v2, v21
	v_pk_fma_f32 v[20:21], v[16:17], v[6:7], v[22:23] neg_lo:[1,0,0] neg_hi:[1,0,0]
	v_pk_fma_f32 v[22:23], v[16:17], v[6:7], v[22:23] op_sel_hi:[0,1,1]
	v_pk_add_f32 v[2:3], v[18:19], v[2:3] neg_lo:[0,1] neg_hi:[0,1]
	v_mov_b32_e32 v21, v23
	v_pk_fma_f32 v[2:3], v[16:17], v[6:7], v[2:3] op_sel_hi:[0,1,1]
	ds_write_b64 v102, v[20:21] offset:2080
	ds_write_b64 v4, v[2:3] offset:8736
	ds_read_b64 v[2:3], v4 offset:8320
	ds_read_b64 v[6:7], v102 offset:2496
	global_load_dwordx2 v[16:17], v[0:1], off offset:64
	v_cmp_gt_u32_e32 vcc, 26, v50
	s_waitcnt lgkmcnt(0)
	v_pk_add_f32 v[18:19], v[6:7], v[2:3]
	v_pk_add_f32 v[2:3], v[6:7], v[2:3] neg_lo:[0,1] neg_hi:[0,1]
	v_mov_b32_e32 v6, v19
	v_mov_b32_e32 v7, v2
	;; [unrolled: 1-line block ×3, first 2 shown]
	s_waitcnt vmcnt(4)
	v_pk_mul_f32 v[20:21], v[6:7], v[14:15] op_sel:[0,1]
	s_nop 0
	v_pk_add_f32 v[22:23], v[18:19], v[20:21] op_sel:[0,1] op_sel_hi:[1,0]
	v_mov_b32_e32 v19, v20
	v_mov_b32_e32 v2, v21
	v_pk_fma_f32 v[20:21], v[14:15], v[6:7], v[22:23] neg_lo:[1,0,0] neg_hi:[1,0,0]
	v_pk_fma_f32 v[22:23], v[14:15], v[6:7], v[22:23] op_sel_hi:[0,1,1]
	v_pk_add_f32 v[2:3], v[18:19], v[2:3] neg_lo:[0,1] neg_hi:[0,1]
	v_mov_b32_e32 v21, v23
	v_pk_fma_f32 v[2:3], v[14:15], v[6:7], v[2:3] op_sel_hi:[0,1,1]
	ds_write_b64 v102, v[20:21] offset:2496
	ds_write_b64 v4, v[2:3] offset:8320
	ds_read_b64 v[2:3], v4 offset:7904
	ds_read_b64 v[6:7], v102 offset:2912
	global_load_dwordx2 v[14:15], v[0:1], off offset:480
	s_waitcnt lgkmcnt(0)
	v_pk_add_f32 v[18:19], v[6:7], v[2:3]
	v_pk_add_f32 v[2:3], v[6:7], v[2:3] neg_lo:[0,1] neg_hi:[0,1]
	v_mov_b32_e32 v6, v19
	v_mov_b32_e32 v7, v2
	;; [unrolled: 1-line block ×3, first 2 shown]
	s_waitcnt vmcnt(4)
	v_pk_mul_f32 v[20:21], v[6:7], v[8:9] op_sel:[0,1]
	s_nop 0
	v_pk_add_f32 v[22:23], v[18:19], v[20:21] op_sel:[0,1] op_sel_hi:[1,0]
	v_mov_b32_e32 v19, v20
	v_mov_b32_e32 v2, v21
	v_pk_fma_f32 v[20:21], v[8:9], v[6:7], v[22:23] neg_lo:[1,0,0] neg_hi:[1,0,0]
	v_pk_fma_f32 v[22:23], v[8:9], v[6:7], v[22:23] op_sel_hi:[0,1,1]
	v_pk_add_f32 v[2:3], v[18:19], v[2:3] neg_lo:[0,1] neg_hi:[0,1]
	v_mov_b32_e32 v21, v23
	v_pk_fma_f32 v[2:3], v[8:9], v[6:7], v[2:3] op_sel_hi:[0,1,1]
	ds_write_b64 v102, v[20:21] offset:2912
	ds_write_b64 v4, v[2:3] offset:7904
	ds_read_b64 v[2:3], v4 offset:7488
	ds_read_b64 v[6:7], v102 offset:3328
	global_load_dwordx2 v[0:1], v[0:1], off offset:896
	s_waitcnt lgkmcnt(0)
	v_pk_add_f32 v[8:9], v[6:7], v[2:3]
	v_pk_add_f32 v[2:3], v[6:7], v[2:3] neg_lo:[0,1] neg_hi:[0,1]
	v_mov_b32_e32 v6, v9
	v_mov_b32_e32 v7, v2
	v_mov_b32_e32 v9, v3
	s_waitcnt vmcnt(4)
	v_pk_mul_f32 v[18:19], v[6:7], v[10:11] op_sel:[0,1]
	s_nop 0
	v_pk_add_f32 v[20:21], v[8:9], v[18:19] op_sel:[0,1] op_sel_hi:[1,0]
	v_mov_b32_e32 v9, v18
	v_mov_b32_e32 v2, v19
	v_pk_fma_f32 v[18:19], v[10:11], v[6:7], v[20:21] neg_lo:[1,0,0] neg_hi:[1,0,0]
	v_pk_fma_f32 v[20:21], v[10:11], v[6:7], v[20:21] op_sel_hi:[0,1,1]
	v_pk_add_f32 v[2:3], v[8:9], v[2:3] neg_lo:[0,1] neg_hi:[0,1]
	v_mov_b32_e32 v19, v21
	v_pk_fma_f32 v[2:3], v[10:11], v[6:7], v[2:3] op_sel_hi:[0,1,1]
	ds_write_b64 v102, v[18:19] offset:3328
	ds_write_b64 v4, v[2:3] offset:7488
	ds_read_b64 v[2:3], v4 offset:7072
	ds_read_b64 v[6:7], v102 offset:3744
	s_waitcnt lgkmcnt(0)
	v_pk_add_f32 v[8:9], v[6:7], v[2:3]
	v_pk_add_f32 v[2:3], v[6:7], v[2:3] neg_lo:[0,1] neg_hi:[0,1]
	v_mov_b32_e32 v6, v9
	v_mov_b32_e32 v7, v2
	v_mov_b32_e32 v9, v3
	s_waitcnt vmcnt(3)
	v_pk_mul_f32 v[10:11], v[6:7], v[12:13] op_sel:[0,1]
	s_nop 0
	v_pk_add_f32 v[18:19], v[8:9], v[10:11] op_sel:[0,1] op_sel_hi:[1,0]
	v_mov_b32_e32 v9, v10
	v_mov_b32_e32 v2, v11
	v_pk_fma_f32 v[10:11], v[12:13], v[6:7], v[18:19] neg_lo:[1,0,0] neg_hi:[1,0,0]
	v_pk_fma_f32 v[18:19], v[12:13], v[6:7], v[18:19] op_sel_hi:[0,1,1]
	v_pk_add_f32 v[2:3], v[8:9], v[2:3] neg_lo:[0,1] neg_hi:[0,1]
	v_mov_b32_e32 v11, v19
	v_pk_fma_f32 v[2:3], v[12:13], v[6:7], v[2:3] op_sel_hi:[0,1,1]
	ds_write_b64 v102, v[10:11] offset:3744
	ds_write_b64 v4, v[2:3] offset:7072
	ds_read_b64 v[2:3], v4 offset:6656
	ds_read_b64 v[6:7], v102 offset:4160
	;; [unrolled: 21-line block ×4, first 2 shown]
	s_waitcnt lgkmcnt(0)
	v_pk_add_f32 v[8:9], v[6:7], v[2:3]
	v_pk_add_f32 v[2:3], v[6:7], v[2:3] neg_lo:[0,1] neg_hi:[0,1]
	v_mov_b32_e32 v6, v9
	v_mov_b32_e32 v7, v2
	;; [unrolled: 1-line block ×3, first 2 shown]
	s_waitcnt vmcnt(0)
	v_pk_mul_f32 v[10:11], v[6:7], v[0:1] op_sel:[0,1]
	s_nop 0
	v_pk_add_f32 v[12:13], v[8:9], v[10:11] op_sel:[0,1] op_sel_hi:[1,0]
	v_mov_b32_e32 v9, v10
	v_mov_b32_e32 v2, v11
	v_pk_fma_f32 v[14:15], v[0:1], v[6:7], v[12:13] neg_lo:[1,0,0] neg_hi:[1,0,0]
	v_pk_fma_f32 v[12:13], v[0:1], v[6:7], v[12:13] op_sel_hi:[0,1,1]
	v_pk_add_f32 v[2:3], v[8:9], v[2:3] neg_lo:[0,1] neg_hi:[0,1]
	v_mov_b32_e32 v15, v13
	v_pk_fma_f32 v[0:1], v[0:1], v[6:7], v[2:3] op_sel_hi:[0,1,1]
	ds_write_b64 v102, v[14:15] offset:4992
	ds_write_b64 v4, v[0:1] offset:5824
	s_waitcnt lgkmcnt(0)
	; wave barrier
	s_waitcnt lgkmcnt(0)
	s_waitcnt lgkmcnt(0)
	; wave barrier
	s_waitcnt lgkmcnt(0)
	ds_read2_b64 v[0:3], v102 offset1:52
	ds_read2_b64 v[4:7], v51 offset0:112 offset1:164
	ds_read2_b64 v[8:11], v108 offset0:88 offset1:140
	;; [unrolled: 1-line block ×7, first 2 shown]
	s_waitcnt lgkmcnt(5)
	v_pk_add_f32 v[8:9], v[2:3], v[8:9] neg_lo:[0,1] neg_hi:[0,1]
	ds_read2_b64 v[32:35], v105 offset0:16 offset1:68
	ds_read2_b64 v[36:39], v106 offset0:160 offset1:212
	;; [unrolled: 1-line block ×5, first 2 shown]
	v_pk_fma_f32 v[2:3], v[2:3], 2.0, v[8:9] op_sel_hi:[1,0,1] neg_lo:[0,0,1] neg_hi:[0,0,1]
	s_waitcnt lgkmcnt(0)
	; wave barrier
	s_waitcnt lgkmcnt(0)
	ds_write2_b64 v58, v[2:3], v[8:9] offset1:1
	v_lshl_add_u32 v58, v50, 4, 0
	v_pk_add_f32 v[2:3], v[14:15], v[16:17] neg_lo:[0,1] neg_hi:[0,1]
	v_add_u32_e32 v59, 0x9c0, v58
	v_pk_fma_f32 v[8:9], v[14:15], 2.0, v[2:3] op_sel_hi:[1,0,1] neg_lo:[0,0,1] neg_hi:[0,0,1]
	ds_write2_b64 v59, v[8:9], v[2:3] offset1:1
	v_pk_add_f32 v[2:3], v[0:1], v[6:7] neg_lo:[0,1] neg_hi:[0,1]
	v_pk_add_f32 v[6:7], v[12:13], v[10:11] neg_lo:[0,1] neg_hi:[0,1]
	;; [unrolled: 1-line block ×3, first 2 shown]
	v_pk_fma_f32 v[0:1], v[0:1], 2.0, v[2:3] op_sel_hi:[1,0,1] neg_lo:[0,0,1] neg_hi:[0,0,1]
	v_pk_fma_f32 v[8:9], v[12:13], 2.0, v[6:7] op_sel_hi:[1,0,1] neg_lo:[0,0,1] neg_hi:[0,0,1]
	v_pk_add_f32 v[10:11], v[20:21], v[18:19] neg_lo:[0,1] neg_hi:[0,1]
	v_pk_fma_f32 v[16:17], v[22:23], 2.0, v[14:15] op_sel_hi:[1,0,1] neg_lo:[0,0,1] neg_hi:[0,0,1]
	v_pk_add_f32 v[18:19], v[28:29], v[26:27] neg_lo:[0,1] neg_hi:[0,1]
	v_pk_add_f32 v[22:23], v[30:31], v[32:33] neg_lo:[0,1] neg_hi:[0,1]
	;; [unrolled: 1-line block ×3, first 2 shown]
	v_lshl_add_u32 v59, v50, 3, v102
	v_pk_fma_f32 v[12:13], v[20:21], 2.0, v[10:11] op_sel_hi:[1,0,1] neg_lo:[0,0,1] neg_hi:[0,0,1]
	v_pk_fma_f32 v[24:25], v[30:31], 2.0, v[22:23] op_sel_hi:[1,0,1] neg_lo:[0,0,1] neg_hi:[0,0,1]
	ds_write2_b64 v59, v[0:1], v[2:3] offset1:1
	v_pk_fma_f32 v[0:1], v[36:37], 2.0, v[26:27] op_sel_hi:[1,0,1] neg_lo:[0,0,1] neg_hi:[0,0,1]
	v_pk_add_f32 v[2:3], v[38:39], v[40:41] neg_lo:[0,1] neg_hi:[0,1]
	v_add_u32_e32 v36, 0xd00, v58
	v_pk_add_f32 v[30:31], v[44:45], v[42:43] neg_lo:[0,1] neg_hi:[0,1]
	ds_write2_b64 v58, v[8:9], v[6:7] offset0:208 offset1:209
	v_pk_add_f32 v[8:9], v[46:47], v[54:55] neg_lo:[0,1] neg_hi:[0,1]
	v_pk_add_f32 v[34:35], v[4:5], v[56:57] neg_lo:[0,1] neg_hi:[0,1]
	v_pk_fma_f32 v[20:21], v[28:29], 2.0, v[18:19] op_sel_hi:[1,0,1] neg_lo:[0,0,1] neg_hi:[0,0,1]
	v_pk_fma_f32 v[28:29], v[38:39], 2.0, v[2:3] op_sel_hi:[1,0,1] neg_lo:[0,0,1] neg_hi:[0,0,1]
	v_add_u32_e32 v37, 0x1040, v58
	v_lshl_add_u32 v38, v107, 4, 0
	v_add_u32_e32 v39, 0x16c0, v59
	v_pk_fma_f32 v[6:7], v[44:45], 2.0, v[30:31] op_sel_hi:[1,0,1] neg_lo:[0,0,1] neg_hi:[0,0,1]
	v_pk_fma_f32 v[32:33], v[46:47], 2.0, v[8:9] op_sel_hi:[1,0,1] neg_lo:[0,0,1] neg_hi:[0,0,1]
	v_add_u32_e32 v40, 0x1a00, v58
	v_add_u32_e32 v41, 0x1d40, v59
	;; [unrolled: 1-line block ×5, first 2 shown]
	v_pk_fma_f32 v[4:5], v[4:5], 2.0, v[34:35] op_sel_hi:[1,0,1] neg_lo:[0,0,1] neg_hi:[0,0,1]
	ds_write2_b64 v36, v[12:13], v[10:11] offset1:1
	ds_write2_b64 v37, v[16:17], v[14:15] offset1:1
	;; [unrolled: 1-line block ×9, first 2 shown]
	v_mul_u32_u24_e32 v0, 12, v111
	v_lshlrev_b32_e32 v12, 3, v0
	s_waitcnt lgkmcnt(0)
	; wave barrier
	s_waitcnt lgkmcnt(0)
	global_load_dwordx4 v[8:11], v12, s[8:9] offset:32
	global_load_dwordx4 v[0:3], v12, s[8:9] offset:48
	;; [unrolled: 1-line block ×5, first 2 shown]
	global_load_dwordx4 v[58:61], v12, s[8:9]
	ds_read2_b64 v[24:27], v51 offset0:8 offset1:60
	ds_read2_b64 v[28:31], v51 offset0:112 offset1:164
	;; [unrolled: 1-line block ×4, first 2 shown]
	s_waitcnt vmcnt(5) lgkmcnt(3)
	v_pk_mul_f32 v[14:15], v[26:27], v[8:9] op_sel:[0,1]
	s_nop 0
	v_pk_fma_f32 v[18:19], v[26:27], v[8:9], v[14:15] op_sel:[0,0,1] op_sel_hi:[1,0,0] neg_lo:[0,0,1] neg_hi:[0,0,1]
	v_pk_fma_f32 v[12:13], v[26:27], v[8:9], v[14:15] op_sel:[0,0,1] op_sel_hi:[1,1,0]
	v_mov_b32_e32 v18, v11
	v_pk_mul_f32 v[26:27], v[24:25], v[8:9] op_sel:[0,1]
	s_waitcnt lgkmcnt(2)
	v_pk_mul_f32 v[16:17], v[30:31], v[18:19] op_sel_hi:[1,0]
	v_pk_fma_f32 v[74:75], v[24:25], v[8:9], v[26:27] op_sel:[0,0,1] op_sel_hi:[1,1,0]
	v_pk_fma_f32 v[62:63], v[24:25], v[8:9], v[26:27] op_sel:[0,0,1] op_sel_hi:[1,0,0] neg_lo:[0,0,1] neg_hi:[0,0,1]
	v_pk_mul_f32 v[8:9], v[28:29], v[18:19] op_sel_hi:[1,0]
	v_pk_fma_f32 v[20:21], v[30:31], v[10:11], v[16:17] op_sel:[0,0,1] op_sel_hi:[1,0,0] neg_lo:[0,0,1] neg_hi:[0,0,1]
	v_pk_fma_f32 v[78:79], v[28:29], v[10:11], v[8:9] op_sel:[0,0,1] op_sel_hi:[1,1,0]
	v_pk_fma_f32 v[64:65], v[28:29], v[10:11], v[8:9] op_sel:[0,0,1] op_sel_hi:[1,0,0] neg_lo:[0,0,1] neg_hi:[0,0,1]
	ds_read2_b64 v[26:29], v103 offset0:168 offset1:220
	s_waitcnt vmcnt(4)
	v_mov_b32_e32 v20, v3
	v_pk_fma_f32 v[14:15], v[30:31], v[10:11], v[16:17] op_sel:[0,0,1] op_sel_hi:[1,1,0]
	s_waitcnt lgkmcnt(1)
	v_pk_mul_f32 v[10:11], v[56:57], v[20:21] op_sel_hi:[1,0]
	v_pk_mul_f32 v[22:23], v[34:35], v[0:1] op_sel:[0,1]
	v_pk_fma_f32 v[8:9], v[56:57], v[2:3], v[10:11] op_sel:[0,0,1] op_sel_hi:[1,1,0]
	v_pk_fma_f32 v[24:25], v[56:57], v[2:3], v[10:11] op_sel:[0,0,1] op_sel_hi:[1,0,0] neg_lo:[0,0,1] neg_hi:[0,0,1]
	v_pk_mul_f32 v[10:11], v[32:33], v[0:1] op_sel:[0,1]
	v_pk_fma_f32 v[16:17], v[34:35], v[0:1], v[22:23] op_sel:[0,0,1] op_sel_hi:[1,1,0]
	v_pk_fma_f32 v[22:23], v[34:35], v[0:1], v[22:23] op_sel:[0,0,1] op_sel_hi:[1,0,0] neg_lo:[0,0,1] neg_hi:[0,0,1]
	v_pk_fma_f32 v[80:81], v[32:33], v[0:1], v[10:11] op_sel:[0,0,1] op_sel_hi:[1,1,0]
	v_pk_fma_f32 v[66:67], v[32:33], v[0:1], v[10:11] op_sel:[0,0,1] op_sel_hi:[1,0,0] neg_lo:[0,0,1] neg_hi:[0,0,1]
	v_pk_mul_f32 v[0:1], v[54:55], v[20:21] op_sel_hi:[1,0]
	ds_read2_b64 v[32:35], v105 offset0:120 offset1:172
	v_pk_fma_f32 v[76:77], v[54:55], v[2:3], v[0:1] op_sel:[0,0,1] op_sel_hi:[1,1,0]
	v_pk_fma_f32 v[68:69], v[54:55], v[2:3], v[0:1] op_sel:[0,0,1] op_sel_hi:[1,0,0] neg_lo:[0,0,1] neg_hi:[0,0,1]
	s_waitcnt vmcnt(3) lgkmcnt(1)
	v_pk_mul_f32 v[0:1], v[28:29], v[4:5] op_sel:[0,1]
	v_pk_mul_f32 v[30:31], v[26:27], v[4:5] op_sel:[0,1]
	v_pk_fma_f32 v[10:11], v[28:29], v[4:5], v[0:1] op_sel:[0,0,1] op_sel_hi:[1,1,0]
	v_pk_fma_f32 v[28:29], v[28:29], v[4:5], v[0:1] op_sel:[0,0,1] op_sel_hi:[1,0,0] neg_lo:[0,0,1] neg_hi:[0,0,1]
	ds_read2_b64 v[0:3], v105 offset0:16 offset1:68
	v_mov_b32_e32 v18, v7
	v_pk_fma_f32 v[70:71], v[26:27], v[4:5], v[30:31] op_sel:[0,0,1] op_sel_hi:[1,1,0]
	v_pk_fma_f32 v[72:73], v[26:27], v[4:5], v[30:31] op_sel:[0,0,1] op_sel_hi:[1,0,0] neg_lo:[0,0,1] neg_hi:[0,0,1]
	ds_read2_b64 v[54:57], v106 offset0:160 offset1:212
	s_waitcnt lgkmcnt(1)
	v_pk_mul_f32 v[26:27], v[2:3], v[18:19] op_sel_hi:[1,0]
	v_mov_b32_e32 v75, v63
	v_pk_fma_f32 v[4:5], v[2:3], v[6:7], v[26:27] op_sel:[0,0,1] op_sel_hi:[1,1,0]
	v_pk_fma_f32 v[30:31], v[2:3], v[6:7], v[26:27] op_sel:[0,0,1] op_sel_hi:[1,0,0] neg_lo:[0,0,1] neg_hi:[0,0,1]
	v_pk_mul_f32 v[2:3], v[0:1], v[18:19] op_sel_hi:[1,0]
	s_waitcnt vmcnt(2)
	v_pk_mul_f32 v[26:27], v[32:33], v[38:39] op_sel:[0,1]
	v_pk_fma_f32 v[82:83], v[0:1], v[6:7], v[2:3] op_sel:[0,0,1] op_sel_hi:[1,1,0]
	v_pk_fma_f32 v[84:85], v[0:1], v[6:7], v[2:3] op_sel:[0,0,1] op_sel_hi:[1,0,0] neg_lo:[0,0,1] neg_hi:[0,0,1]
	v_pk_mul_f32 v[0:1], v[34:35], v[38:39] op_sel:[0,1]
	v_mov_b32_e32 v18, v41
	v_pk_fma_f32 v[6:7], v[34:35], v[38:39], v[0:1] op_sel:[0,0,1] op_sel_hi:[1,1,0]
	v_pk_fma_f32 v[34:35], v[34:35], v[38:39], v[0:1] op_sel:[0,0,1] op_sel_hi:[1,0,0] neg_lo:[0,0,1] neg_hi:[0,0,1]
	ds_read2_b64 v[0:3], v109 offset0:96 offset1:148
	v_pk_fma_f32 v[86:87], v[32:33], v[38:39], v[26:27] op_sel:[0,0,1] op_sel_hi:[1,1,0]
	v_pk_fma_f32 v[88:89], v[32:33], v[38:39], v[26:27] op_sel:[0,0,1] op_sel_hi:[1,0,0] neg_lo:[0,0,1] neg_hi:[0,0,1]
	v_mov_b32_e32 v79, v65
	v_mov_b32_e32 v81, v67
	s_waitcnt lgkmcnt(0)
	v_pk_mul_f32 v[32:33], v[2:3], v[18:19] op_sel_hi:[1,0]
	v_mov_b32_e32 v77, v69
	v_pk_fma_f32 v[26:27], v[2:3], v[40:41], v[32:33] op_sel:[0,0,1] op_sel_hi:[1,1,0]
	v_pk_fma_f32 v[38:39], v[2:3], v[40:41], v[32:33] op_sel:[0,0,1] op_sel_hi:[1,0,0] neg_lo:[0,0,1] neg_hi:[0,0,1]
	v_pk_mul_f32 v[2:3], v[0:1], v[18:19] op_sel_hi:[1,0]
	s_waitcnt vmcnt(1)
	v_mov_b32_e32 v18, v45
	v_pk_fma_f32 v[90:91], v[0:1], v[40:41], v[2:3] op_sel:[0,0,1] op_sel_hi:[1,1,0]
	v_pk_fma_f32 v[92:93], v[0:1], v[40:41], v[2:3] op_sel:[0,0,1] op_sel_hi:[1,0,0] neg_lo:[0,0,1] neg_hi:[0,0,1]
	v_pk_mul_f32 v[36:37], v[56:57], v[18:19] op_sel_hi:[1,0]
	ds_read2_b64 v[0:3], v106 offset0:56 offset1:108
	v_pk_fma_f32 v[32:33], v[56:57], v[44:45], v[36:37] op_sel:[0,0,1] op_sel_hi:[1,1,0]
	v_pk_fma_f32 v[40:41], v[56:57], v[44:45], v[36:37] op_sel:[0,0,1] op_sel_hi:[1,0,0] neg_lo:[0,0,1] neg_hi:[0,0,1]
	v_pk_mul_f32 v[36:37], v[54:55], v[18:19] op_sel_hi:[1,0]
	s_waitcnt vmcnt(0)
	v_mov_b32_e32 v18, v61
	v_pk_fma_f32 v[94:95], v[54:55], v[44:45], v[36:37] op_sel:[0,0,1] op_sel_hi:[1,1,0]
	v_pk_fma_f32 v[96:97], v[54:55], v[44:45], v[36:37] op_sel:[0,0,1] op_sel_hi:[1,0,0] neg_lo:[0,0,1] neg_hi:[0,0,1]
	ds_read2_b64 v[54:57], v104 offset0:80 offset1:132
	s_waitcnt lgkmcnt(1)
	v_pk_mul_f32 v[44:45], v[2:3], v[42:43] op_sel:[0,1]
	v_mov_b32_e32 v95, v97
	v_pk_fma_f32 v[36:37], v[2:3], v[42:43], v[44:45] op_sel:[0,0,1] op_sel_hi:[1,1,0]
	v_pk_fma_f32 v[44:45], v[2:3], v[42:43], v[44:45] op_sel:[0,0,1] op_sel_hi:[1,0,0] neg_lo:[0,0,1] neg_hi:[0,0,1]
	v_pk_mul_f32 v[2:3], v[0:1], v[42:43] op_sel:[0,1]
	s_waitcnt lgkmcnt(0)
	v_pk_mul_f32 v[46:47], v[56:57], v[18:19] op_sel_hi:[1,0]
	v_pk_fma_f32 v[98:99], v[0:1], v[42:43], v[2:3] op_sel:[0,0,1] op_sel_hi:[1,1,0]
	v_pk_fma_f32 v[100:101], v[0:1], v[42:43], v[2:3] op_sel:[0,0,1] op_sel_hi:[1,0,0] neg_lo:[0,0,1] neg_hi:[0,0,1]
	v_pk_mul_f32 v[0:1], v[60:61], v[54:55] op_sel:[0,1]
	v_pk_fma_f32 v[42:43], v[56:57], v[60:61], v[46:47] op_sel:[0,0,1] op_sel_hi:[1,1,0]
	v_pk_fma_f32 v[112:113], v[60:61], v[54:55], v[0:1] op_sel:[0,0,1] op_sel_hi:[1,1,0]
	v_pk_fma_f32 v[114:115], v[60:61], v[54:55], v[0:1] op_sel:[0,0,1] op_sel_hi:[1,0,0] neg_lo:[1,0,0] neg_hi:[1,0,0]
	ds_read2_b64 v[0:3], v102 offset0:104 offset1:156
	v_pk_fma_f32 v[54:55], v[56:57], v[60:61], v[46:47] op_sel:[0,0,1] op_sel_hi:[1,0,0] neg_lo:[0,0,1] neg_hi:[0,0,1]
	v_mov_b32_e32 v113, v115
	v_mov_b32_e32 v99, v101
	;; [unrolled: 1-line block ×3, first 2 shown]
	s_waitcnt lgkmcnt(0)
	v_pk_mul_f32 v[56:57], v[2:3], v[58:59] op_sel:[0,1]
	v_pk_mul_f32 v[60:61], v[58:59], v[0:1] op_sel_hi:[1,0]
	v_pk_fma_f32 v[46:47], v[2:3], v[58:59], v[56:57] op_sel:[0,0,1] op_sel_hi:[1,1,0]
	v_pk_fma_f32 v[56:57], v[2:3], v[58:59], v[56:57] op_sel:[0,0,1] op_sel_hi:[1,0,0] neg_lo:[0,0,1] neg_hi:[0,0,1]
	v_mov_b32_e32 v2, v1
	v_pk_fma_f32 v[116:117], v[58:59], v[0:1], v[60:61] op_sel:[1,1,0] op_sel_hi:[0,1,1] neg_lo:[0,0,1] neg_hi:[0,0,1]
	v_pk_fma_f32 v[58:59], v[58:59], v[2:3], v[60:61] op_sel:[1,0,0] op_sel_hi:[0,1,1]
	ds_read2_b64 v[0:3], v102 offset1:52
	v_mov_b32_e32 v59, v117
	v_mov_b32_e32 v83, v85
	v_mov_b32_e32 v91, v93
	v_mov_b32_e32 v87, v89
	s_waitcnt lgkmcnt(0)
	v_pk_add_f32 v[60:61], v[58:59], v[0:1]
	v_pk_add_f32 v[116:117], v[58:59], v[90:91] neg_lo:[0,1] neg_hi:[0,1]
	v_pk_add_f32 v[60:61], v[60:61], v[112:113]
	v_pk_add_f32 v[114:115], v[58:59], v[90:91]
	;; [unrolled: 1-line block ×3, first 2 shown]
	v_pk_mul_f32 v[58:59], v[116:117], s[46:47] op_sel_hi:[1,0]
	v_pk_add_f32 v[60:61], v[60:61], v[94:95]
	v_pk_add_f32 v[118:119], v[112:113], v[86:87]
	;; [unrolled: 1-line block ×3, first 2 shown]
	v_pk_add_f32 v[112:113], v[112:113], v[86:87] neg_lo:[0,1] neg_hi:[0,1]
	v_pk_add_f32 v[60:61], v[60:61], v[78:79]
	v_pk_add_f32 v[122:123], v[98:99], v[82:83] neg_lo:[0,1] neg_hi:[0,1]
	v_pk_add_f32 v[60:61], v[60:61], v[80:81]
	v_pk_add_f32 v[120:121], v[98:99], v[82:83]
	v_pk_add_f32 v[60:61], v[60:61], v[76:77]
	v_pk_add_f32 v[126:127], v[94:95], v[70:71] neg_lo:[0,1] neg_hi:[0,1]
	v_pk_add_f32 v[60:61], v[60:61], v[70:71]
	v_pk_add_f32 v[124:125], v[94:95], v[70:71]
	;; [unrolled: 4-line block ×3, first 2 shown]
	v_pk_add_f32 v[84:85], v[60:61], v[90:91]
	v_pk_fma_f32 v[60:61], v[114:115], s[12:13], v[58:59] op_sel:[0,0,1] op_sel_hi:[1,0,0]
	v_pk_fma_f32 v[58:59], v[114:115], s[12:13], v[58:59] op_sel:[0,0,1] op_sel_hi:[1,0,0] neg_lo:[0,0,1] neg_hi:[0,0,1]
	v_mov_b32_e32 v62, v60
	v_mov_b32_e32 v63, v59
	v_pk_add_f32 v[66:67], v[62:63], v[0:1]
	v_pk_mul_f32 v[62:63], v[112:113], s[28:29] op_sel_hi:[1,0]
	v_pk_mul_f32 v[76:77], v[130:131], s[26:27] op_sel_hi:[1,0]
	v_pk_fma_f32 v[64:65], v[118:119], s[4:5], v[62:63] op_sel:[0,0,1] op_sel_hi:[1,0,0]
	v_pk_fma_f32 v[62:63], v[118:119], s[4:5], v[62:63] op_sel:[0,0,1] op_sel_hi:[1,0,0] neg_lo:[0,0,1] neg_hi:[0,0,1]
	v_mov_b32_e32 v68, v64
	v_mov_b32_e32 v69, v63
	v_pk_add_f32 v[72:73], v[68:69], v[66:67]
	v_pk_mul_f32 v[68:69], v[122:123], s[36:37] op_sel_hi:[1,0]
	v_pk_add_f32 v[134:135], v[78:79], v[80:81] neg_lo:[0,1] neg_hi:[0,1]
	v_pk_fma_f32 v[66:67], v[120:121], s[22:23], v[68:69] op_sel:[0,0,1] op_sel_hi:[1,0,0]
	v_pk_fma_f32 v[68:69], v[120:121], s[22:23], v[68:69] op_sel:[0,0,1] op_sel_hi:[1,0,0] neg_lo:[0,0,1] neg_hi:[0,0,1]
	v_mov_b32_e32 v82, v66
	v_mov_b32_e32 v83, v69
	v_pk_add_f32 v[82:83], v[82:83], v[72:73]
	v_pk_mul_f32 v[72:73], v[126:127], s[24:25] op_sel_hi:[1,0]
	v_pk_fma_f32 v[74:75], v[128:129], s[20:21], v[76:77] op_sel:[0,0,1] op_sel_hi:[1,0,0]
	v_pk_fma_f32 v[70:71], v[124:125], s[14:15], v[72:73] op_sel:[0,0,1] op_sel_hi:[1,0,0]
	v_pk_fma_f32 v[72:73], v[124:125], s[14:15], v[72:73] op_sel:[0,0,1] op_sel_hi:[1,0,0] neg_lo:[0,0,1] neg_hi:[0,0,1]
	v_mov_b32_e32 v86, v70
	v_mov_b32_e32 v87, v73
	v_pk_fma_f32 v[76:77], v[128:129], s[20:21], v[76:77] op_sel:[0,0,1] op_sel_hi:[1,0,0] neg_lo:[0,0,1] neg_hi:[0,0,1]
	v_pk_add_f32 v[132:133], v[78:79], v[80:81]
	v_pk_mul_f32 v[80:81], v[134:135], s[18:19] op_sel_hi:[1,0]
	v_lshrrev_b32_e32 v5, 1, v50
	v_pk_add_f32 v[82:83], v[86:87], v[82:83]
	v_mov_b32_e32 v86, v74
	v_mov_b32_e32 v87, v77
	v_pk_fma_f32 v[78:79], v[132:133], s[16:17], v[80:81] op_sel:[0,0,1] op_sel_hi:[1,0,0]
	v_pk_fma_f32 v[80:81], v[132:133], s[16:17], v[80:81] op_sel:[0,0,1] op_sel_hi:[1,0,0] neg_lo:[0,0,1] neg_hi:[0,0,1]
	v_mul_u32_u24_e32 v5, 26, v5
	v_pk_add_f32 v[82:83], v[86:87], v[82:83]
	v_mov_b32_e32 v86, v78
	v_mov_b32_e32 v87, v81
	v_or_b32_e32 v5, v5, v111
	v_pk_add_f32 v[82:83], v[86:87], v[82:83]
	v_lshl_add_u32 v20, v5, 3, 0
	s_waitcnt lgkmcnt(0)
	; wave barrier
	ds_write2_b64 v20, v[84:85], v[82:83] offset1:2
	v_pk_mul_f32 v[82:83], v[116:117], s[28:29] op_sel_hi:[1,0]
	v_pk_mul_f32 v[148:149], v[112:113], s[18:19] op_sel_hi:[1,0]
	v_pk_fma_f32 v[84:85], v[114:115], s[4:5], v[82:83] op_sel:[0,0,1] op_sel_hi:[1,0,0]
	v_pk_fma_f32 v[82:83], v[114:115], s[4:5], v[82:83] op_sel:[0,0,1] op_sel_hi:[1,0,0] neg_lo:[0,0,1] neg_hi:[0,0,1]
	v_mov_b32_e32 v86, v84
	v_mov_b32_e32 v87, v83
	v_pk_add_f32 v[90:91], v[86:87], v[0:1]
	v_pk_mul_f32 v[86:87], v[112:113], s[24:25] op_sel_hi:[1,0]
	v_pk_fma_f32 v[150:151], v[118:119], s[16:17], v[148:149] op_sel:[0,0,1] op_sel_hi:[1,0,0]
	v_pk_fma_f32 v[88:89], v[118:119], s[14:15], v[86:87] op_sel:[0,0,1] op_sel_hi:[1,0,0]
	v_pk_fma_f32 v[86:87], v[118:119], s[14:15], v[86:87] op_sel:[0,0,1] op_sel_hi:[1,0,0] neg_lo:[0,0,1] neg_hi:[0,0,1]
	v_mov_b32_e32 v92, v88
	v_mov_b32_e32 v93, v87
	v_pk_add_f32 v[94:95], v[92:93], v[90:91]
	v_pk_mul_f32 v[92:93], v[122:123], s[18:19] op_sel_hi:[1,0]
	v_pk_fma_f32 v[148:149], v[118:119], s[16:17], v[148:149] op_sel:[0,0,1] op_sel_hi:[1,0,0] neg_lo:[0,0,1] neg_hi:[0,0,1]
	v_pk_fma_f32 v[90:91], v[120:121], s[16:17], v[92:93] op_sel:[0,0,1] op_sel_hi:[1,0,0]
	v_pk_fma_f32 v[92:93], v[120:121], s[16:17], v[92:93] op_sel:[0,0,1] op_sel_hi:[1,0,0] neg_lo:[0,0,1] neg_hi:[0,0,1]
	v_mov_b32_e32 v96, v90
	v_mov_b32_e32 v97, v93
	v_pk_add_f32 v[98:99], v[96:97], v[94:95]
	v_pk_mul_f32 v[96:97], v[126:127], s[42:43] op_sel_hi:[1,0]
	v_mov_b32_e32 v152, v150
	v_pk_fma_f32 v[94:95], v[124:125], s[20:21], v[96:97] op_sel:[0,0,1] op_sel_hi:[1,0,0]
	v_pk_fma_f32 v[96:97], v[124:125], s[20:21], v[96:97] op_sel:[0,0,1] op_sel_hi:[1,0,0] neg_lo:[0,0,1] neg_hi:[0,0,1]
	v_mov_b32_e32 v100, v94
	v_mov_b32_e32 v101, v97
	v_pk_add_f32 v[136:137], v[100:101], v[98:99]
	v_pk_mul_f32 v[100:101], v[130:131], s[30:31] op_sel_hi:[1,0]
	v_mov_b32_e32 v153, v149
	v_pk_fma_f32 v[98:99], v[128:129], s[22:23], v[100:101] op_sel:[0,0,1] op_sel_hi:[1,0,0]
	v_pk_fma_f32 v[100:101], v[128:129], s[22:23], v[100:101] op_sel:[0,0,1] op_sel_hi:[1,0,0] neg_lo:[0,0,1] neg_hi:[0,0,1]
	v_mov_b32_e32 v138, v98
	v_mov_b32_e32 v139, v101
	v_pk_add_f32 v[136:137], v[138:139], v[136:137]
	v_pk_mul_f32 v[138:139], v[134:135], s[34:35] op_sel_hi:[1,0]
	v_pk_mul_f32 v[170:171], v[112:113], s[42:43] op_sel_hi:[1,0]
	v_pk_fma_f32 v[140:141], v[132:133], s[12:13], v[138:139] op_sel:[0,0,1] op_sel_hi:[1,0,0]
	v_pk_fma_f32 v[138:139], v[132:133], s[12:13], v[138:139] op_sel:[0,0,1] op_sel_hi:[1,0,0] neg_lo:[0,0,1] neg_hi:[0,0,1]
	v_mov_b32_e32 v142, v140
	v_mov_b32_e32 v143, v139
	v_pk_add_f32 v[136:137], v[142:143], v[136:137]
	v_pk_mul_f32 v[142:143], v[116:117], s[36:37] op_sel_hi:[1,0]
	v_pk_fma_f32 v[172:173], v[118:119], s[20:21], v[170:171] op_sel:[0,0,1] op_sel_hi:[1,0,0]
	v_pk_fma_f32 v[144:145], v[114:115], s[22:23], v[142:143] op_sel:[0,0,1] op_sel_hi:[1,0,0]
	v_pk_fma_f32 v[142:143], v[114:115], s[22:23], v[142:143] op_sel:[0,0,1] op_sel_hi:[1,0,0] neg_lo:[0,0,1] neg_hi:[0,0,1]
	v_mov_b32_e32 v146, v144
	v_mov_b32_e32 v147, v143
	v_pk_add_f32 v[146:147], v[146:147], v[0:1]
	v_pk_fma_f32 v[170:171], v[118:119], s[20:21], v[170:171] op_sel:[0,0,1] op_sel_hi:[1,0,0] neg_lo:[0,0,1] neg_hi:[0,0,1]
	v_pk_add_f32 v[146:147], v[152:153], v[146:147]
	v_pk_mul_f32 v[152:153], v[122:123], s[44:45] op_sel_hi:[1,0]
	v_mov_b32_e32 v174, v172
	v_pk_fma_f32 v[154:155], v[120:121], s[14:15], v[152:153] op_sel:[0,0,1] op_sel_hi:[1,0,0]
	v_pk_fma_f32 v[152:153], v[120:121], s[14:15], v[152:153] op_sel:[0,0,1] op_sel_hi:[1,0,0] neg_lo:[0,0,1] neg_hi:[0,0,1]
	v_mov_b32_e32 v156, v154
	v_mov_b32_e32 v157, v153
	v_pk_add_f32 v[146:147], v[156:157], v[146:147]
	v_pk_mul_f32 v[156:157], v[126:127], s[34:35] op_sel_hi:[1,0]
	v_mov_b32_e32 v175, v171
	v_pk_fma_f32 v[158:159], v[124:125], s[12:13], v[156:157] op_sel:[0,0,1] op_sel_hi:[1,0,0]
	v_pk_fma_f32 v[156:157], v[124:125], s[12:13], v[156:157] op_sel:[0,0,1] op_sel_hi:[1,0,0] neg_lo:[0,0,1] neg_hi:[0,0,1]
	v_mov_b32_e32 v160, v158
	v_mov_b32_e32 v161, v157
	v_pk_add_f32 v[146:147], v[160:161], v[146:147]
	v_pk_mul_f32 v[160:161], v[130:131], s[28:29] op_sel_hi:[1,0]
	v_pk_mul_f32 v[196:197], v[112:113], s[30:31] op_sel_hi:[1,0]
	v_pk_fma_f32 v[162:163], v[128:129], s[4:5], v[160:161] op_sel:[0,0,1] op_sel_hi:[1,0,0]
	v_pk_fma_f32 v[160:161], v[128:129], s[4:5], v[160:161] op_sel:[0,0,1] op_sel_hi:[1,0,0] neg_lo:[0,0,1] neg_hi:[0,0,1]
	v_mov_b32_e32 v164, v162
	v_mov_b32_e32 v165, v161
	v_pk_add_f32 v[146:147], v[164:165], v[146:147]
	v_pk_mul_f32 v[164:165], v[134:135], s[26:27] op_sel_hi:[1,0]
	v_pk_fma_f32 v[198:199], v[118:119], s[22:23], v[196:197] op_sel:[0,0,1] op_sel_hi:[1,0,0]
	v_pk_fma_f32 v[166:167], v[132:133], s[20:21], v[164:165] op_sel:[0,0,1] op_sel_hi:[1,0,0]
	v_pk_fma_f32 v[164:165], v[132:133], s[20:21], v[164:165] op_sel:[0,0,1] op_sel_hi:[1,0,0] neg_lo:[0,0,1] neg_hi:[0,0,1]
	v_mov_b32_e32 v168, v166
	v_mov_b32_e32 v169, v165
	v_pk_add_f32 v[146:147], v[168:169], v[146:147]
	ds_write2_b64 v20, v[136:137], v[146:147] offset0:4 offset1:6
	v_pk_mul_f32 v[136:137], v[116:117], s[24:25] op_sel_hi:[1,0]
	v_pk_fma_f32 v[196:197], v[118:119], s[22:23], v[196:197] op_sel:[0,0,1] op_sel_hi:[1,0,0] neg_lo:[0,0,1] neg_hi:[0,0,1]
	v_pk_fma_f32 v[146:147], v[114:115], s[14:15], v[136:137] op_sel:[0,0,1] op_sel_hi:[1,0,0]
	v_pk_fma_f32 v[136:137], v[114:115], s[14:15], v[136:137] op_sel:[0,0,1] op_sel_hi:[1,0,0] neg_lo:[0,0,1] neg_hi:[0,0,1]
	v_mov_b32_e32 v168, v146
	v_mov_b32_e32 v169, v137
	v_pk_add_f32 v[168:169], v[168:169], v[0:1]
	v_mov_b32_e32 v200, v198
	v_pk_add_f32 v[168:169], v[174:175], v[168:169]
	v_pk_mul_f32 v[174:175], v[122:123], s[34:35] op_sel_hi:[1,0]
	v_mov_b32_e32 v201, v197
	v_pk_fma_f32 v[176:177], v[120:121], s[12:13], v[174:175] op_sel:[0,0,1] op_sel_hi:[1,0,0]
	v_pk_fma_f32 v[174:175], v[120:121], s[12:13], v[174:175] op_sel:[0,0,1] op_sel_hi:[1,0,0] neg_lo:[0,0,1] neg_hi:[0,0,1]
	v_mov_b32_e32 v178, v176
	v_mov_b32_e32 v179, v175
	v_pk_add_f32 v[168:169], v[178:179], v[168:169]
	v_pk_mul_f32 v[178:179], v[126:127], s[36:37] op_sel_hi:[1,0]
	v_pk_mul_f32 v[112:113], v[112:113], s[34:35] op_sel_hi:[1,0]
	v_pk_fma_f32 v[180:181], v[124:125], s[22:23], v[178:179] op_sel:[0,0,1] op_sel_hi:[1,0,0]
	v_pk_fma_f32 v[178:179], v[124:125], s[22:23], v[178:179] op_sel:[0,0,1] op_sel_hi:[1,0,0] neg_lo:[0,0,1] neg_hi:[0,0,1]
	v_mov_b32_e32 v182, v180
	v_mov_b32_e32 v183, v179
	v_pk_add_f32 v[168:169], v[182:183], v[168:169]
	v_pk_mul_f32 v[182:183], v[130:131], s[40:41] op_sel_hi:[1,0]
	v_mov_b32_e32 v137, v147
	v_pk_fma_f32 v[184:185], v[128:129], s[16:17], v[182:183] op_sel:[0,0,1] op_sel_hi:[1,0,0]
	v_pk_fma_f32 v[182:183], v[128:129], s[16:17], v[182:183] op_sel:[0,0,1] op_sel_hi:[1,0,0] neg_lo:[0,0,1] neg_hi:[0,0,1]
	v_mov_b32_e32 v186, v184
	v_mov_b32_e32 v187, v183
	v_pk_add_f32 v[168:169], v[186:187], v[168:169]
	v_pk_mul_f32 v[186:187], v[134:135], s[38:39] op_sel_hi:[1,0]
	v_mov_b32_e32 v47, v57
	v_pk_fma_f32 v[188:189], v[132:133], s[4:5], v[186:187] op_sel:[0,0,1] op_sel_hi:[1,0,0]
	v_pk_fma_f32 v[186:187], v[132:133], s[4:5], v[186:187] op_sel:[0,0,1] op_sel_hi:[1,0,0] neg_lo:[0,0,1] neg_hi:[0,0,1]
	v_mov_b32_e32 v190, v188
	v_mov_b32_e32 v191, v187
	v_pk_add_f32 v[168:169], v[190:191], v[168:169]
	v_pk_mul_f32 v[190:191], v[116:117], s[26:27] op_sel_hi:[1,0]
	v_pk_mul_f32 v[116:117], v[116:117], s[18:19] op_sel_hi:[1,0]
	v_pk_fma_f32 v[192:193], v[114:115], s[20:21], v[190:191] op_sel:[0,0,1] op_sel_hi:[1,0,0]
	v_pk_fma_f32 v[190:191], v[114:115], s[20:21], v[190:191] op_sel:[0,0,1] op_sel_hi:[1,0,0] neg_lo:[0,0,1] neg_hi:[0,0,1]
	v_mov_b32_e32 v194, v192
	v_mov_b32_e32 v195, v191
	v_pk_add_f32 v[194:195], v[194:195], v[0:1]
	v_mov_b32_e32 v191, v193
	v_pk_add_f32 v[194:195], v[200:201], v[194:195]
	v_pk_mul_f32 v[200:201], v[122:123], s[28:29] op_sel_hi:[1,0]
	v_pk_mul_f32 v[122:123], v[122:123], s[26:27] op_sel_hi:[1,0]
	v_pk_fma_f32 v[202:203], v[120:121], s[4:5], v[200:201] op_sel:[0,0,1] op_sel_hi:[1,0,0]
	v_pk_fma_f32 v[200:201], v[120:121], s[4:5], v[200:201] op_sel:[0,0,1] op_sel_hi:[1,0,0] neg_lo:[0,0,1] neg_hi:[0,0,1]
	v_mov_b32_e32 v204, v202
	v_mov_b32_e32 v205, v201
	v_pk_add_f32 v[194:195], v[204:205], v[194:195]
	v_pk_mul_f32 v[204:205], v[126:127], s[40:41] op_sel_hi:[1,0]
	v_mov_b32_e32 v197, v199
	v_pk_fma_f32 v[206:207], v[124:125], s[16:17], v[204:205] op_sel:[0,0,1] op_sel_hi:[1,0,0]
	v_pk_fma_f32 v[204:205], v[124:125], s[16:17], v[204:205] op_sel:[0,0,1] op_sel_hi:[1,0,0] neg_lo:[0,0,1] neg_hi:[0,0,1]
	v_mov_b32_e32 v208, v206
	v_mov_b32_e32 v209, v205
	v_pk_add_f32 v[194:195], v[208:209], v[194:195]
	v_pk_mul_f32 v[208:209], v[130:131], s[34:35] op_sel_hi:[1,0]
	v_mov_b32_e32 v171, v173
	;; [unrolled: 7-line block ×3, first 2 shown]
	v_pk_fma_f32 v[214:215], v[132:133], s[14:15], v[212:213] op_sel:[0,0,1] op_sel_hi:[1,0,0]
	v_pk_fma_f32 v[212:213], v[132:133], s[14:15], v[212:213] op_sel:[0,0,1] op_sel_hi:[1,0,0] neg_lo:[0,0,1] neg_hi:[0,0,1]
	v_mov_b32_e32 v216, v214
	v_mov_b32_e32 v217, v213
	v_pk_add_f32 v[194:195], v[216:217], v[194:195]
	ds_write2_b64 v20, v[168:169], v[194:195] offset0:8 offset1:10
	v_pk_fma_f32 v[168:169], v[114:115], s[16:17], v[116:117] op_sel:[0,0,1] op_sel_hi:[1,0,0]
	v_pk_fma_f32 v[114:115], v[114:115], s[16:17], v[116:117] op_sel:[0,0,1] op_sel_hi:[1,0,0] neg_lo:[0,0,1] neg_hi:[0,0,1]
	v_pk_fma_f32 v[116:117], v[118:119], s[12:13], v[112:113] op_sel:[0,0,1] op_sel_hi:[1,0,0]
	v_pk_fma_f32 v[112:113], v[118:119], s[12:13], v[112:113] op_sel:[0,0,1] op_sel_hi:[1,0,0] neg_lo:[0,0,1] neg_hi:[0,0,1]
	v_mov_b32_e32 v118, v168
	v_mov_b32_e32 v119, v115
	v_pk_add_f32 v[118:119], v[118:119], v[0:1]
	v_mov_b32_e32 v194, v116
	v_mov_b32_e32 v195, v113
	v_pk_add_f32 v[118:119], v[194:195], v[118:119]
	v_pk_fma_f32 v[194:195], v[120:121], s[20:21], v[122:123] op_sel:[0,0,1] op_sel_hi:[1,0,0]
	v_pk_fma_f32 v[120:121], v[120:121], s[20:21], v[122:123] op_sel:[0,0,1] op_sel_hi:[1,0,0] neg_lo:[0,0,1] neg_hi:[0,0,1]
	v_mov_b32_e32 v122, v194
	v_mov_b32_e32 v123, v121
	v_pk_add_f32 v[118:119], v[122:123], v[118:119]
	v_pk_mul_f32 v[122:123], v[126:127], s[38:39] op_sel_hi:[1,0]
	v_mov_b32_e32 v115, v169
	v_pk_fma_f32 v[126:127], v[124:125], s[4:5], v[122:123] op_sel:[0,0,1] op_sel_hi:[1,0,0]
	v_pk_fma_f32 v[122:123], v[124:125], s[4:5], v[122:123] op_sel:[0,0,1] op_sel_hi:[1,0,0] neg_lo:[0,0,1] neg_hi:[0,0,1]
	v_mov_b32_e32 v124, v126
	v_mov_b32_e32 v125, v123
	v_pk_add_f32 v[118:119], v[124:125], v[118:119]
	v_pk_mul_f32 v[124:125], v[130:131], s[24:25] op_sel_hi:[1,0]
	v_mov_b32_e32 v113, v117
	v_pk_fma_f32 v[130:131], v[128:129], s[14:15], v[124:125] op_sel:[0,0,1] op_sel_hi:[1,0,0]
	v_pk_fma_f32 v[124:125], v[128:129], s[14:15], v[124:125] op_sel:[0,0,1] op_sel_hi:[1,0,0] neg_lo:[0,0,1] neg_hi:[0,0,1]
	v_pk_add_f32 v[114:115], v[114:115], v[0:1]
	v_mov_b32_e32 v128, v130
	v_mov_b32_e32 v129, v125
	v_pk_add_f32 v[112:113], v[112:113], v[114:115]
	v_mov_b32_e32 v121, v195
	v_pk_add_f32 v[118:119], v[128:129], v[118:119]
	v_pk_mul_f32 v[128:129], v[134:135], s[30:31] op_sel_hi:[1,0]
	v_pk_add_f32 v[112:113], v[120:121], v[112:113]
	v_mov_b32_e32 v123, v127
	v_pk_fma_f32 v[134:135], v[132:133], s[22:23], v[128:129] op_sel:[0,0,1] op_sel_hi:[1,0,0]
	v_pk_fma_f32 v[128:129], v[132:133], s[22:23], v[128:129] op_sel:[0,0,1] op_sel_hi:[1,0,0] neg_lo:[0,0,1] neg_hi:[0,0,1]
	v_pk_add_f32 v[112:113], v[122:123], v[112:113]
	v_mov_b32_e32 v125, v131
	v_mov_b32_e32 v132, v134
	;; [unrolled: 1-line block ×3, first 2 shown]
	v_pk_add_f32 v[112:113], v[124:125], v[112:113]
	v_mov_b32_e32 v129, v135
	v_pk_add_f32 v[118:119], v[132:133], v[118:119]
	v_pk_add_f32 v[112:113], v[128:129], v[112:113]
	ds_write2_b64 v20, v[118:119], v[112:113] offset0:12 offset1:14
	v_pk_add_f32 v[112:113], v[190:191], v[0:1]
	v_pk_add_f32 v[114:115], v[136:137], v[0:1]
	v_mov_b32_e32 v43, v55
	v_pk_add_f32 v[18:19], v[46:47], v[2:3]
	v_pk_add_f32 v[112:113], v[196:197], v[112:113]
	v_mov_b32_e32 v201, v203
	v_pk_add_f32 v[114:115], v[170:171], v[114:115]
	v_mov_b32_e32 v175, v177
	v_mov_b32_e32 v37, v45
	v_pk_add_f32 v[18:19], v[18:19], v[42:43]
	v_pk_add_f32 v[112:113], v[200:201], v[112:113]
	v_mov_b32_e32 v205, v207
	v_pk_add_f32 v[114:115], v[174:175], v[114:115]
	v_mov_b32_e32 v179, v181
	;; [unrolled: 6-line block ×3, first 2 shown]
	v_pk_add_f32 v[18:19], v[18:19], v[32:33]
	v_pk_add_f32 v[112:113], v[208:209], v[112:113]
	v_mov_b32_e32 v213, v215
	v_pk_add_f32 v[114:115], v[182:183], v[114:115]
	v_mov_b32_e32 v187, v189
	v_mov_b32_e32 v15, v21
	v_pk_add_f32 v[18:19], v[18:19], v[12:13]
	v_pk_add_f32 v[112:113], v[212:213], v[112:113]
	;; [unrolled: 1-line block ×3, first 2 shown]
	v_mov_b32_e32 v143, v145
	v_mov_b32_e32 v83, v85
	;; [unrolled: 1-line block ×3, first 2 shown]
	v_pk_add_f32 v[18:19], v[18:19], v[14:15]
	ds_write2_b64 v20, v[112:113], v[114:115] offset0:16 offset1:18
	v_mov_b32_e32 v149, v151
	v_pk_add_f32 v[112:113], v[142:143], v[0:1]
	v_mov_b32_e32 v87, v89
	v_pk_add_f32 v[82:83], v[82:83], v[0:1]
	v_mov_b32_e32 v9, v25
	v_mov_b32_e32 v7, v35
	v_pk_add_f32 v[34:35], v[14:15], v[16:17]
	v_pk_add_f32 v[40:41], v[14:15], v[16:17] neg_lo:[0,1] neg_hi:[0,1]
	v_pk_add_f32 v[14:15], v[18:19], v[16:17]
	v_pk_add_f32 v[112:113], v[148:149], v[112:113]
	v_mov_b32_e32 v153, v155
	v_pk_add_f32 v[82:83], v[86:87], v[82:83]
	v_mov_b32_e32 v93, v91
	v_mov_b32_e32 v11, v29
	v_pk_add_f32 v[44:45], v[12:13], v[8:9]
	v_pk_add_f32 v[54:55], v[12:13], v[8:9] neg_lo:[0,1] neg_hi:[0,1]
	v_pk_add_f32 v[8:9], v[14:15], v[8:9]
	v_pk_add_f32 v[112:113], v[152:153], v[112:113]
	v_mov_b32_e32 v157, v159
	v_pk_add_f32 v[82:83], v[92:93], v[82:83]
	v_mov_b32_e32 v97, v95
	v_mov_b32_e32 v5, v31
	;; [unrolled: 1-line block ×3, first 2 shown]
	v_pk_add_f32 v[8:9], v[8:9], v[10:11]
	v_pk_add_f32 v[112:113], v[156:157], v[112:113]
	v_mov_b32_e32 v161, v163
	v_pk_add_f32 v[82:83], v[96:97], v[82:83]
	v_mov_b32_e32 v101, v99
	v_pk_add_f32 v[84:85], v[36:37], v[4:5]
	v_pk_add_f32 v[86:87], v[36:37], v[4:5] neg_lo:[0,1] neg_hi:[0,1]
	v_pk_add_f32 v[4:5], v[8:9], v[4:5]
	v_pk_add_f32 v[88:89], v[46:47], v[26:27]
	v_pk_add_f32 v[46:47], v[46:47], v[26:27] neg_lo:[0,1] neg_hi:[0,1]
	v_pk_add_f32 v[112:113], v[160:161], v[112:113]
	v_mov_b32_e32 v165, v167
	v_pk_add_f32 v[82:83], v[100:101], v[82:83]
	v_mov_b32_e32 v139, v141
	v_pk_add_f32 v[4:5], v[4:5], v[6:7]
	v_pk_add_f32 v[90:91], v[42:43], v[6:7]
	v_pk_add_f32 v[42:43], v[42:43], v[6:7] neg_lo:[0,1] neg_hi:[0,1]
	v_pk_mul_f32 v[6:7], v[46:47], s[46:47] op_sel_hi:[1,0]
	v_pk_add_f32 v[112:113], v[164:165], v[112:113]
	v_pk_add_f32 v[82:83], v[138:139], v[82:83]
	;; [unrolled: 1-line block ×3, first 2 shown]
	v_pk_fma_f32 v[4:5], v[88:89], s[12:13], v[6:7] op_sel:[0,0,1] op_sel_hi:[1,0,0]
	v_pk_fma_f32 v[6:7], v[88:89], s[12:13], v[6:7] op_sel:[0,0,1] op_sel_hi:[1,0,0] neg_lo:[0,0,1] neg_hi:[0,0,1]
	ds_write2_b64 v20, v[112:113], v[82:83] offset0:20 offset1:22
	v_pk_add_f32 v[56:57], v[32:33], v[10:11]
	v_pk_add_f32 v[82:83], v[32:33], v[10:11] neg_lo:[0,1] neg_hi:[0,1]
	v_mov_b32_e32 v8, v4
	v_mov_b32_e32 v9, v7
	v_pk_mul_f32 v[10:11], v[42:43], s[28:29] op_sel_hi:[1,0]
	v_mov_b32_e32 v59, v61
	v_pk_add_f32 v[12:13], v[8:9], v[2:3]
	v_pk_fma_f32 v[8:9], v[90:91], s[4:5], v[10:11] op_sel:[0,0,1] op_sel_hi:[1,0,0]
	v_pk_fma_f32 v[10:11], v[90:91], s[4:5], v[10:11] op_sel:[0,0,1] op_sel_hi:[1,0,0] neg_lo:[0,0,1] neg_hi:[0,0,1]
	v_mov_b32_e32 v63, v65
	v_pk_add_f32 v[0:1], v[58:59], v[0:1]
	v_mov_b32_e32 v14, v8
	v_mov_b32_e32 v15, v11
	v_pk_add_f32 v[0:1], v[62:63], v[0:1]
	v_mov_b32_e32 v69, v67
	v_pk_add_f32 v[16:17], v[14:15], v[12:13]
	v_pk_mul_f32 v[14:15], v[86:87], s[36:37] op_sel_hi:[1,0]
	v_pk_add_f32 v[0:1], v[68:69], v[0:1]
	v_mov_b32_e32 v73, v71
	v_pk_fma_f32 v[12:13], v[84:85], s[22:23], v[14:15] op_sel:[0,0,1] op_sel_hi:[1,0,0]
	v_pk_fma_f32 v[14:15], v[84:85], s[22:23], v[14:15] op_sel:[0,0,1] op_sel_hi:[1,0,0] neg_lo:[0,0,1] neg_hi:[0,0,1]
	v_pk_add_f32 v[0:1], v[72:73], v[0:1]
	v_mov_b32_e32 v77, v75
	v_mov_b32_e32 v18, v12
	;; [unrolled: 1-line block ×3, first 2 shown]
	v_pk_add_f32 v[0:1], v[76:77], v[0:1]
	v_mov_b32_e32 v81, v79
	v_pk_add_f32 v[18:19], v[18:19], v[16:17]
	v_pk_add_f32 v[0:1], v[80:81], v[0:1]
	v_pk_mul_f32 v[16:17], v[82:83], s[24:25] op_sel_hi:[1,0]
	ds_write_b64 v20, v[0:1] offset:192
	v_pk_fma_f32 v[0:1], v[56:57], s[14:15], v[16:17] op_sel:[0,0,1] op_sel_hi:[1,0,0]
	v_pk_fma_f32 v[16:17], v[56:57], s[14:15], v[16:17] op_sel:[0,0,1] op_sel_hi:[1,0,0] neg_lo:[0,0,1] neg_hi:[0,0,1]
	v_mov_b32_e32 v20, v0
	v_mov_b32_e32 v21, v17
	v_pk_add_f32 v[22:23], v[20:21], v[18:19]
	v_pk_mul_f32 v[20:21], v[54:55], s[26:27] op_sel_hi:[1,0]
	v_lshrrev_b32_e32 v0, 1, v110
	v_pk_fma_f32 v[18:19], v[44:45], s[20:21], v[20:21] op_sel:[0,0,1] op_sel_hi:[1,0,0]
	v_pk_fma_f32 v[20:21], v[44:45], s[20:21], v[20:21] op_sel:[0,0,1] op_sel_hi:[1,0,0] neg_lo:[0,0,1] neg_hi:[0,0,1]
	v_mov_b32_e32 v24, v18
	v_mov_b32_e32 v25, v21
	v_pk_add_f32 v[28:29], v[24:25], v[22:23]
	v_pk_mul_f32 v[24:25], v[40:41], s[18:19] op_sel_hi:[1,0]
	v_mul_u32_u24_e32 v0, 26, v0
	v_pk_fma_f32 v[22:23], v[34:35], s[16:17], v[24:25] op_sel:[0,0,1] op_sel_hi:[1,0,0]
	v_pk_fma_f32 v[24:25], v[34:35], s[16:17], v[24:25] op_sel:[0,0,1] op_sel_hi:[1,0,0] neg_lo:[0,0,1] neg_hi:[0,0,1]
	v_mov_b32_e32 v30, v22
	v_mov_b32_e32 v31, v25
	v_or_b32_e32 v0, v0, v111
	v_pk_add_f32 v[28:29], v[30:31], v[28:29]
	v_lshl_add_u32 v4, v0, 3, 0
	ds_write2_b64 v4, v[26:27], v[28:29] offset1:2
	v_pk_mul_f32 v[26:27], v[46:47], s[28:29] op_sel_hi:[1,0]
	v_pk_mul_f32 v[78:79], v[42:43], s[18:19] op_sel_hi:[1,0]
	v_pk_fma_f32 v[28:29], v[88:89], s[4:5], v[26:27] op_sel:[0,0,1] op_sel_hi:[1,0,0]
	v_pk_fma_f32 v[26:27], v[88:89], s[4:5], v[26:27] op_sel:[0,0,1] op_sel_hi:[1,0,0] neg_lo:[0,0,1] neg_hi:[0,0,1]
	v_mov_b32_e32 v30, v28
	v_mov_b32_e32 v31, v27
	v_pk_add_f32 v[36:37], v[30:31], v[2:3]
	v_pk_mul_f32 v[30:31], v[42:43], s[24:25] op_sel_hi:[1,0]
	v_pk_fma_f32 v[80:81], v[90:91], s[16:17], v[78:79] op_sel:[0,0,1] op_sel_hi:[1,0,0]
	v_pk_fma_f32 v[32:33], v[90:91], s[14:15], v[30:31] op_sel:[0,0,1] op_sel_hi:[1,0,0]
	v_pk_fma_f32 v[30:31], v[90:91], s[14:15], v[30:31] op_sel:[0,0,1] op_sel_hi:[1,0,0] neg_lo:[0,0,1] neg_hi:[0,0,1]
	v_mov_b32_e32 v38, v32
	v_mov_b32_e32 v39, v31
	v_pk_add_f32 v[58:59], v[38:39], v[36:37]
	v_pk_mul_f32 v[38:39], v[86:87], s[18:19] op_sel_hi:[1,0]
	v_pk_fma_f32 v[78:79], v[90:91], s[16:17], v[78:79] op_sel:[0,0,1] op_sel_hi:[1,0,0] neg_lo:[0,0,1] neg_hi:[0,0,1]
	v_pk_fma_f32 v[36:37], v[84:85], s[16:17], v[38:39] op_sel:[0,0,1] op_sel_hi:[1,0,0]
	v_pk_fma_f32 v[38:39], v[84:85], s[16:17], v[38:39] op_sel:[0,0,1] op_sel_hi:[1,0,0] neg_lo:[0,0,1] neg_hi:[0,0,1]
	v_mov_b32_e32 v60, v36
	v_mov_b32_e32 v61, v39
	v_pk_add_f32 v[58:59], v[60:61], v[58:59]
	v_pk_mul_f32 v[60:61], v[82:83], s[42:43] op_sel_hi:[1,0]
	v_mov_b32_e32 v92, v80
	v_pk_fma_f32 v[62:63], v[56:57], s[20:21], v[60:61] op_sel:[0,0,1] op_sel_hi:[1,0,0]
	v_pk_fma_f32 v[60:61], v[56:57], s[20:21], v[60:61] op_sel:[0,0,1] op_sel_hi:[1,0,0] neg_lo:[0,0,1] neg_hi:[0,0,1]
	v_mov_b32_e32 v64, v62
	v_mov_b32_e32 v65, v61
	v_pk_add_f32 v[58:59], v[64:65], v[58:59]
	v_pk_mul_f32 v[64:65], v[54:55], s[30:31] op_sel_hi:[1,0]
	v_mov_b32_e32 v93, v79
	v_pk_fma_f32 v[66:67], v[44:45], s[22:23], v[64:65] op_sel:[0,0,1] op_sel_hi:[1,0,0]
	v_pk_fma_f32 v[64:65], v[44:45], s[22:23], v[64:65] op_sel:[0,0,1] op_sel_hi:[1,0,0] neg_lo:[0,0,1] neg_hi:[0,0,1]
	v_mov_b32_e32 v68, v66
	v_mov_b32_e32 v69, v65
	v_pk_add_f32 v[58:59], v[68:69], v[58:59]
	v_pk_mul_f32 v[68:69], v[40:41], s[34:35] op_sel_hi:[1,0]
	v_pk_mul_f32 v[120:121], v[42:43], s[42:43] op_sel_hi:[1,0]
	v_pk_fma_f32 v[70:71], v[34:35], s[12:13], v[68:69] op_sel:[0,0,1] op_sel_hi:[1,0,0]
	v_pk_fma_f32 v[68:69], v[34:35], s[12:13], v[68:69] op_sel:[0,0,1] op_sel_hi:[1,0,0] neg_lo:[0,0,1] neg_hi:[0,0,1]
	v_mov_b32_e32 v72, v70
	v_mov_b32_e32 v73, v69
	v_pk_add_f32 v[58:59], v[72:73], v[58:59]
	v_pk_mul_f32 v[72:73], v[46:47], s[36:37] op_sel_hi:[1,0]
	v_pk_fma_f32 v[122:123], v[90:91], s[20:21], v[120:121] op_sel:[0,0,1] op_sel_hi:[1,0,0]
	v_pk_fma_f32 v[74:75], v[88:89], s[22:23], v[72:73] op_sel:[0,0,1] op_sel_hi:[1,0,0]
	v_pk_fma_f32 v[72:73], v[88:89], s[22:23], v[72:73] op_sel:[0,0,1] op_sel_hi:[1,0,0] neg_lo:[0,0,1] neg_hi:[0,0,1]
	v_mov_b32_e32 v76, v74
	v_mov_b32_e32 v77, v73
	v_pk_add_f32 v[76:77], v[76:77], v[2:3]
	v_pk_fma_f32 v[120:121], v[90:91], s[20:21], v[120:121] op_sel:[0,0,1] op_sel_hi:[1,0,0] neg_lo:[0,0,1] neg_hi:[0,0,1]
	v_pk_add_f32 v[76:77], v[92:93], v[76:77]
	v_pk_mul_f32 v[92:93], v[86:87], s[44:45] op_sel_hi:[1,0]
	v_mov_b32_e32 v124, v122
	v_pk_fma_f32 v[94:95], v[84:85], s[14:15], v[92:93] op_sel:[0,0,1] op_sel_hi:[1,0,0]
	v_pk_fma_f32 v[92:93], v[84:85], s[14:15], v[92:93] op_sel:[0,0,1] op_sel_hi:[1,0,0] neg_lo:[0,0,1] neg_hi:[0,0,1]
	v_mov_b32_e32 v96, v94
	v_mov_b32_e32 v97, v93
	v_pk_add_f32 v[76:77], v[96:97], v[76:77]
	v_pk_mul_f32 v[96:97], v[82:83], s[34:35] op_sel_hi:[1,0]
	v_mov_b32_e32 v125, v121
	v_pk_fma_f32 v[98:99], v[56:57], s[12:13], v[96:97] op_sel:[0,0,1] op_sel_hi:[1,0,0]
	v_pk_fma_f32 v[96:97], v[56:57], s[12:13], v[96:97] op_sel:[0,0,1] op_sel_hi:[1,0,0] neg_lo:[0,0,1] neg_hi:[0,0,1]
	v_mov_b32_e32 v100, v98
	v_mov_b32_e32 v101, v97
	v_pk_add_f32 v[76:77], v[100:101], v[76:77]
	v_pk_mul_f32 v[100:101], v[54:55], s[28:29] op_sel_hi:[1,0]
	v_pk_mul_f32 v[146:147], v[42:43], s[30:31] op_sel_hi:[1,0]
	v_pk_fma_f32 v[112:113], v[44:45], s[4:5], v[100:101] op_sel:[0,0,1] op_sel_hi:[1,0,0]
	v_pk_fma_f32 v[100:101], v[44:45], s[4:5], v[100:101] op_sel:[0,0,1] op_sel_hi:[1,0,0] neg_lo:[0,0,1] neg_hi:[0,0,1]
	v_mov_b32_e32 v114, v112
	v_mov_b32_e32 v115, v101
	v_pk_add_f32 v[76:77], v[114:115], v[76:77]
	v_pk_mul_f32 v[114:115], v[40:41], s[26:27] op_sel_hi:[1,0]
	v_pk_fma_f32 v[148:149], v[90:91], s[22:23], v[146:147] op_sel:[0,0,1] op_sel_hi:[1,0,0]
	v_pk_fma_f32 v[116:117], v[34:35], s[20:21], v[114:115] op_sel:[0,0,1] op_sel_hi:[1,0,0]
	v_pk_fma_f32 v[114:115], v[34:35], s[20:21], v[114:115] op_sel:[0,0,1] op_sel_hi:[1,0,0] neg_lo:[0,0,1] neg_hi:[0,0,1]
	v_mov_b32_e32 v118, v116
	v_mov_b32_e32 v119, v115
	v_pk_add_f32 v[76:77], v[118:119], v[76:77]
	ds_write2_b64 v4, v[58:59], v[76:77] offset0:4 offset1:6
	v_pk_mul_f32 v[58:59], v[46:47], s[24:25] op_sel_hi:[1,0]
	v_pk_fma_f32 v[146:147], v[90:91], s[22:23], v[146:147] op_sel:[0,0,1] op_sel_hi:[1,0,0] neg_lo:[0,0,1] neg_hi:[0,0,1]
	v_pk_fma_f32 v[76:77], v[88:89], s[14:15], v[58:59] op_sel:[0,0,1] op_sel_hi:[1,0,0]
	v_pk_fma_f32 v[58:59], v[88:89], s[14:15], v[58:59] op_sel:[0,0,1] op_sel_hi:[1,0,0] neg_lo:[0,0,1] neg_hi:[0,0,1]
	v_mov_b32_e32 v118, v76
	v_mov_b32_e32 v119, v59
	v_pk_add_f32 v[118:119], v[118:119], v[2:3]
	v_mov_b32_e32 v150, v148
	v_pk_add_f32 v[118:119], v[124:125], v[118:119]
	v_pk_mul_f32 v[124:125], v[86:87], s[34:35] op_sel_hi:[1,0]
	v_mov_b32_e32 v151, v147
	v_pk_fma_f32 v[126:127], v[84:85], s[12:13], v[124:125] op_sel:[0,0,1] op_sel_hi:[1,0,0]
	v_pk_fma_f32 v[124:125], v[84:85], s[12:13], v[124:125] op_sel:[0,0,1] op_sel_hi:[1,0,0] neg_lo:[0,0,1] neg_hi:[0,0,1]
	v_mov_b32_e32 v128, v126
	v_mov_b32_e32 v129, v125
	v_pk_add_f32 v[118:119], v[128:129], v[118:119]
	v_pk_mul_f32 v[128:129], v[82:83], s[36:37] op_sel_hi:[1,0]
	v_pk_mul_f32 v[42:43], v[42:43], s[34:35] op_sel_hi:[1,0]
	v_pk_fma_f32 v[130:131], v[56:57], s[22:23], v[128:129] op_sel:[0,0,1] op_sel_hi:[1,0,0]
	v_pk_fma_f32 v[128:129], v[56:57], s[22:23], v[128:129] op_sel:[0,0,1] op_sel_hi:[1,0,0] neg_lo:[0,0,1] neg_hi:[0,0,1]
	v_mov_b32_e32 v132, v130
	v_mov_b32_e32 v133, v129
	v_pk_add_f32 v[118:119], v[132:133], v[118:119]
	v_pk_mul_f32 v[132:133], v[54:55], s[40:41] op_sel_hi:[1,0]
	v_mov_b32_e32 v59, v77
	v_pk_fma_f32 v[134:135], v[44:45], s[16:17], v[132:133] op_sel:[0,0,1] op_sel_hi:[1,0,0]
	v_pk_fma_f32 v[132:133], v[44:45], s[16:17], v[132:133] op_sel:[0,0,1] op_sel_hi:[1,0,0] neg_lo:[0,0,1] neg_hi:[0,0,1]
	v_mov_b32_e32 v136, v134
	v_mov_b32_e32 v137, v133
	v_pk_add_f32 v[118:119], v[136:137], v[118:119]
	v_pk_mul_f32 v[136:137], v[40:41], s[38:39] op_sel_hi:[1,0]
	v_mov_b32_e32 v147, v149
	v_pk_fma_f32 v[138:139], v[34:35], s[4:5], v[136:137] op_sel:[0,0,1] op_sel_hi:[1,0,0]
	v_pk_fma_f32 v[136:137], v[34:35], s[4:5], v[136:137] op_sel:[0,0,1] op_sel_hi:[1,0,0] neg_lo:[0,0,1] neg_hi:[0,0,1]
	v_mov_b32_e32 v140, v138
	v_mov_b32_e32 v141, v137
	v_pk_add_f32 v[118:119], v[140:141], v[118:119]
	v_pk_mul_f32 v[140:141], v[46:47], s[26:27] op_sel_hi:[1,0]
	v_pk_mul_f32 v[46:47], v[46:47], s[18:19] op_sel_hi:[1,0]
	v_pk_fma_f32 v[142:143], v[88:89], s[20:21], v[140:141] op_sel:[0,0,1] op_sel_hi:[1,0,0]
	v_pk_fma_f32 v[140:141], v[88:89], s[20:21], v[140:141] op_sel:[0,0,1] op_sel_hi:[1,0,0] neg_lo:[0,0,1] neg_hi:[0,0,1]
	v_mov_b32_e32 v144, v142
	v_mov_b32_e32 v145, v141
	v_pk_add_f32 v[144:145], v[144:145], v[2:3]
	v_mov_b32_e32 v141, v143
	v_pk_add_f32 v[144:145], v[150:151], v[144:145]
	v_pk_mul_f32 v[150:151], v[86:87], s[28:29] op_sel_hi:[1,0]
	v_pk_mul_f32 v[86:87], v[86:87], s[26:27] op_sel_hi:[1,0]
	v_pk_fma_f32 v[152:153], v[84:85], s[4:5], v[150:151] op_sel:[0,0,1] op_sel_hi:[1,0,0]
	v_pk_fma_f32 v[150:151], v[84:85], s[4:5], v[150:151] op_sel:[0,0,1] op_sel_hi:[1,0,0] neg_lo:[0,0,1] neg_hi:[0,0,1]
	v_mov_b32_e32 v154, v152
	v_mov_b32_e32 v155, v151
	v_pk_add_f32 v[144:145], v[154:155], v[144:145]
	v_pk_mul_f32 v[154:155], v[82:83], s[40:41] op_sel_hi:[1,0]
	v_pk_mul_f32 v[82:83], v[82:83], s[38:39] op_sel_hi:[1,0]
	v_pk_fma_f32 v[156:157], v[56:57], s[16:17], v[154:155] op_sel:[0,0,1] op_sel_hi:[1,0,0]
	v_pk_fma_f32 v[154:155], v[56:57], s[16:17], v[154:155] op_sel:[0,0,1] op_sel_hi:[1,0,0] neg_lo:[0,0,1] neg_hi:[0,0,1]
	v_mov_b32_e32 v158, v156
	;; [unrolled: 7-line block ×4, first 2 shown]
	v_mov_b32_e32 v167, v163
	v_pk_add_f32 v[144:145], v[166:167], v[144:145]
	ds_write2_b64 v4, v[118:119], v[144:145] offset0:8 offset1:10
	v_pk_fma_f32 v[118:119], v[88:89], s[16:17], v[46:47] op_sel:[0,0,1] op_sel_hi:[1,0,0]
	v_pk_fma_f32 v[46:47], v[88:89], s[16:17], v[46:47] op_sel:[0,0,1] op_sel_hi:[1,0,0] neg_lo:[0,0,1] neg_hi:[0,0,1]
	v_pk_fma_f32 v[88:89], v[90:91], s[12:13], v[42:43] op_sel:[0,0,1] op_sel_hi:[1,0,0]
	v_pk_fma_f32 v[42:43], v[90:91], s[12:13], v[42:43] op_sel:[0,0,1] op_sel_hi:[1,0,0] neg_lo:[0,0,1] neg_hi:[0,0,1]
	v_mov_b32_e32 v90, v118
	v_mov_b32_e32 v91, v47
	v_pk_add_f32 v[90:91], v[90:91], v[2:3]
	v_mov_b32_e32 v144, v88
	v_mov_b32_e32 v145, v43
	v_pk_add_f32 v[90:91], v[144:145], v[90:91]
	v_pk_fma_f32 v[144:145], v[84:85], s[20:21], v[86:87] op_sel:[0,0,1] op_sel_hi:[1,0,0]
	v_pk_fma_f32 v[84:85], v[84:85], s[20:21], v[86:87] op_sel:[0,0,1] op_sel_hi:[1,0,0] neg_lo:[0,0,1] neg_hi:[0,0,1]
	v_mov_b32_e32 v86, v144
	v_mov_b32_e32 v87, v85
	v_pk_add_f32 v[86:87], v[86:87], v[90:91]
	v_pk_fma_f32 v[90:91], v[56:57], s[4:5], v[82:83] op_sel:[0,0,1] op_sel_hi:[1,0,0]
	v_pk_fma_f32 v[56:57], v[56:57], s[4:5], v[82:83] op_sel:[0,0,1] op_sel_hi:[1,0,0] neg_lo:[0,0,1] neg_hi:[0,0,1]
	v_mov_b32_e32 v47, v119
	v_mov_b32_e32 v82, v90
	;; [unrolled: 1-line block ×4, first 2 shown]
	v_pk_add_f32 v[46:47], v[46:47], v[2:3]
	v_pk_add_f32 v[82:83], v[82:83], v[86:87]
	v_pk_fma_f32 v[86:87], v[44:45], s[14:15], v[54:55] op_sel:[0,0,1] op_sel_hi:[1,0,0]
	v_pk_fma_f32 v[44:45], v[44:45], s[14:15], v[54:55] op_sel:[0,0,1] op_sel_hi:[1,0,0] neg_lo:[0,0,1] neg_hi:[0,0,1]
	v_pk_add_f32 v[42:43], v[42:43], v[46:47]
	v_mov_b32_e32 v85, v145
	v_mov_b32_e32 v54, v86
	;; [unrolled: 1-line block ×3, first 2 shown]
	v_pk_add_f32 v[42:43], v[84:85], v[42:43]
	v_mov_b32_e32 v57, v91
	v_pk_add_f32 v[54:55], v[54:55], v[82:83]
	v_pk_fma_f32 v[82:83], v[34:35], s[22:23], v[40:41] op_sel:[0,0,1] op_sel_hi:[1,0,0]
	v_pk_fma_f32 v[34:35], v[34:35], s[22:23], v[40:41] op_sel:[0,0,1] op_sel_hi:[1,0,0] neg_lo:[0,0,1] neg_hi:[0,0,1]
	v_pk_add_f32 v[42:43], v[56:57], v[42:43]
	v_mov_b32_e32 v45, v87
	v_mov_b32_e32 v40, v82
	;; [unrolled: 1-line block ×3, first 2 shown]
	v_pk_add_f32 v[42:43], v[44:45], v[42:43]
	v_mov_b32_e32 v35, v83
	v_pk_add_f32 v[40:41], v[40:41], v[54:55]
	v_pk_add_f32 v[34:35], v[34:35], v[42:43]
	ds_write2_b64 v4, v[40:41], v[34:35] offset0:12 offset1:14
	v_pk_add_f32 v[34:35], v[140:141], v[2:3]
	v_mov_b32_e32 v121, v123
	v_pk_add_f32 v[40:41], v[58:59], v[2:3]
	v_pk_add_f32 v[34:35], v[146:147], v[34:35]
	v_mov_b32_e32 v151, v153
	v_pk_add_f32 v[40:41], v[120:121], v[40:41]
	v_mov_b32_e32 v125, v127
	;; [unrolled: 2-line block ×8, first 2 shown]
	v_pk_add_f32 v[34:35], v[162:163], v[34:35]
	v_pk_add_f32 v[40:41], v[136:137], v[40:41]
	v_mov_b32_e32 v73, v75
	v_mov_b32_e32 v27, v29
	;; [unrolled: 1-line block ×3, first 2 shown]
	ds_write2_b64 v4, v[34:35], v[40:41] offset0:16 offset1:18
	v_pk_add_f32 v[34:35], v[72:73], v[2:3]
	v_pk_add_f32 v[26:27], v[26:27], v[2:3]
	;; [unrolled: 1-line block ×3, first 2 shown]
	v_mov_b32_e32 v11, v9
	v_pk_add_f32 v[2:3], v[10:11], v[2:3]
	v_mov_b32_e32 v15, v13
	v_pk_add_f32 v[2:3], v[14:15], v[2:3]
	v_mov_b32_e32 v17, v1
	v_mov_b32_e32 v79, v81
	v_pk_add_f32 v[0:1], v[16:17], v[2:3]
	v_mov_b32_e32 v21, v19
	v_pk_add_f32 v[34:35], v[78:79], v[34:35]
	;; [unrolled: 2-line block ×5, first 2 shown]
	v_pk_add_f32 v[34:35], v[96:97], v[34:35]
	v_mov_b32_e32 v101, v113
	v_mov_b32_e32 v31, v33
	ds_write_b64 v4, v[0:1] offset:192
	v_mul_lo_u16_sdwa v0, v110, s2 dst_sel:DWORD dst_unused:UNUSED_PAD src0_sel:BYTE_0 src1_sel:DWORD
	v_pk_add_f32 v[34:35], v[100:101], v[34:35]
	v_pk_add_f32 v[26:27], v[30:31], v[26:27]
	v_mov_b32_e32 v39, v37
	v_lshrrev_b16_e32 v101, 11, v0
	v_pk_add_f32 v[26:27], v[38:39], v[26:27]
	v_mov_b32_e32 v61, v63
	v_mul_lo_u16_e32 v0, 26, v101
	v_pk_add_f32 v[26:27], v[60:61], v[26:27]
	v_mov_b32_e32 v65, v67
	v_sub_u16_e32 v110, v110, v0
	v_mov_b32_e32 v0, 12
	v_mov_b32_e32 v115, v117
	v_pk_add_f32 v[26:27], v[64:65], v[26:27]
	v_mov_b32_e32 v69, v71
	v_mul_u32_u24_sdwa v0, v110, v0 dst_sel:DWORD dst_unused:UNUSED_PAD src0_sel:BYTE_0 src1_sel:DWORD
	v_pk_add_f32 v[34:35], v[114:115], v[34:35]
	v_pk_add_f32 v[26:27], v[68:69], v[26:27]
	v_lshlrev_b32_e32 v94, 3, v0
	ds_write2_b64 v4, v[34:35], v[26:27] offset0:20 offset1:22
	s_waitcnt lgkmcnt(0)
	; wave barrier
	s_waitcnt lgkmcnt(0)
	global_load_dwordx4 v[12:15], v94, s[8:9] offset:224
	v_subrev_u32_e32 v100, 26, v50
	v_cndmask_b32_e32 v95, v100, v50, vcc
	v_mul_i32_i24_e32 v54, 12, v95
	v_mov_b32_e32 v55, 0
	v_lshl_add_u64 v[16:17], v[54:55], 3, s[8:9]
	global_load_dwordx4 v[8:11], v[16:17], off offset:224
	global_load_dwordx4 v[0:3], v94, s[8:9] offset:240
	global_load_dwordx4 v[4:7], v[16:17], off offset:240
	global_load_dwordx4 v[18:21], v[16:17], off offset:256
	;; [unrolled: 1-line block ×5, first 2 shown]
	ds_read2_b64 v[22:25], v51 offset0:8 offset1:60
	ds_read2_b64 v[30:33], v51 offset0:112 offset1:164
	;; [unrolled: 1-line block ×4, first 2 shown]
	s_mov_b32 s23, s30
	s_mov_b32 s19, s16
	;; [unrolled: 1-line block ×12, first 2 shown]
	v_mov_b32_e32 v54, 0xa90
	v_cmp_lt_u32_e64 s[2:3], 25, v50
	v_lshlrev_b32_e32 v95, 3, v95
	s_waitcnt vmcnt(7) lgkmcnt(3)
	v_pk_mul_f32 v[16:17], v[24:25], v[12:13] op_sel:[0,1]
	s_nop 0
	v_pk_fma_f32 v[38:39], v[24:25], v[12:13], v[16:17] op_sel:[0,0,1] op_sel_hi:[1,0,0]
	v_pk_fma_f32 v[36:37], v[24:25], v[12:13], v[16:17] op_sel:[0,0,1] op_sel_hi:[1,0,0] neg_lo:[0,0,1] neg_hi:[0,0,1]
	v_mov_b32_e32 v12, v15
	s_waitcnt lgkmcnt(2)
	v_pk_mul_f32 v[12:13], v[32:33], v[12:13] op_sel_hi:[1,0]
	v_cndmask_b32_e64 v54, 0, v54, s[2:3]
	v_pk_fma_f32 v[34:35], v[32:33], v[14:15], v[12:13] op_sel:[0,0,1] op_sel_hi:[1,0,0]
	v_pk_fma_f32 v[32:33], v[32:33], v[14:15], v[12:13] op_sel:[0,0,1] op_sel_hi:[1,0,0] neg_lo:[0,0,1] neg_hi:[0,0,1]
	s_waitcnt vmcnt(6)
	v_pk_mul_f32 v[12:13], v[22:23], v[8:9] op_sel:[0,1]
	v_add3_u32 v54, 0, v54, v95
	v_pk_fma_f32 v[56:57], v[22:23], v[8:9], v[12:13] op_sel:[0,0,1] op_sel_hi:[1,1,0]
	v_pk_fma_f32 v[82:83], v[22:23], v[8:9], v[12:13] op_sel:[0,0,1] op_sel_hi:[1,0,0] neg_lo:[0,0,1] neg_hi:[0,0,1]
	v_mov_b32_e32 v8, v11
	v_pk_mul_f32 v[8:9], v[30:31], v[8:9] op_sel_hi:[1,0]
	v_mov_b32_e32 v57, v83
	v_pk_fma_f32 v[58:59], v[30:31], v[10:11], v[8:9] op_sel:[0,0,1] op_sel_hi:[1,1,0]
	v_pk_fma_f32 v[84:85], v[30:31], v[10:11], v[8:9] op_sel:[0,0,1] op_sel_hi:[1,0,0] neg_lo:[0,0,1] neg_hi:[0,0,1]
	s_waitcnt vmcnt(5) lgkmcnt(1)
	v_pk_mul_f32 v[8:9], v[64:65], v[0:1] op_sel:[0,1]
	v_mov_b32_e32 v59, v85
	v_pk_fma_f32 v[42:43], v[64:65], v[0:1], v[8:9] op_sel:[0,0,1] op_sel_hi:[1,0,0]
	v_pk_fma_f32 v[40:41], v[64:65], v[0:1], v[8:9] op_sel:[0,0,1] op_sel_hi:[1,0,0] neg_lo:[0,0,1] neg_hi:[0,0,1]
	v_mov_b32_e32 v0, v3
	s_waitcnt lgkmcnt(0)
	v_pk_mul_f32 v[0:1], v[68:69], v[0:1] op_sel_hi:[1,0]
	s_mov_b32 s2, s20
	v_pk_fma_f32 v[46:47], v[68:69], v[2:3], v[0:1] op_sel:[0,0,1] op_sel_hi:[1,0,0]
	v_pk_fma_f32 v[44:45], v[68:69], v[2:3], v[0:1] op_sel:[0,0,1] op_sel_hi:[1,0,0] neg_lo:[0,0,1] neg_hi:[0,0,1]
	s_waitcnt vmcnt(4)
	v_pk_mul_f32 v[0:1], v[62:63], v[4:5] op_sel:[0,1]
	s_mov_b32 s3, s26
	v_pk_fma_f32 v[60:61], v[62:63], v[4:5], v[0:1] op_sel:[0,0,1] op_sel_hi:[1,1,0]
	v_pk_fma_f32 v[0:1], v[62:63], v[4:5], v[0:1] op_sel:[0,0,1] op_sel_hi:[1,0,0] neg_lo:[0,0,1] neg_hi:[0,0,1]
	ds_read2_b64 v[2:5], v103 offset0:168 offset1:220
	v_mov_b32_e32 v0, v7
	v_pk_mul_f32 v[8:9], v[66:67], v[0:1] op_sel_hi:[1,0]
	s_waitcnt vmcnt(3)
	v_mov_b32_e32 v0, v21
	v_pk_fma_f32 v[62:63], v[66:67], v[6:7], v[8:9] op_sel:[0,0,1] op_sel_hi:[1,1,0]
	v_pk_fma_f32 v[86:87], v[66:67], v[6:7], v[8:9] op_sel:[0,0,1] op_sel_hi:[1,0,0] neg_lo:[0,0,1] neg_hi:[0,0,1]
	ds_read2_b64 v[6:9], v105 offset0:16 offset1:68
	s_waitcnt lgkmcnt(1)
	v_pk_mul_f32 v[10:11], v[2:3], v[18:19] op_sel:[0,1]
	v_mov_b32_e32 v61, v1
	v_pk_fma_f32 v[64:65], v[2:3], v[18:19], v[10:11] op_sel:[0,0,1] op_sel_hi:[1,1,0]
	v_pk_fma_f32 v[2:3], v[2:3], v[18:19], v[10:11] op_sel:[0,0,1] op_sel_hi:[1,0,0] neg_lo:[0,0,1] neg_hi:[0,0,1]
	ds_read2_b64 v[10:13], v105 offset0:120 offset1:172
	s_waitcnt lgkmcnt(1)
	v_pk_mul_f32 v[14:15], v[6:7], v[0:1] op_sel_hi:[1,0]
	s_waitcnt vmcnt(2)
	v_mov_b32_e32 v0, v29
	v_pk_fma_f32 v[66:67], v[6:7], v[20:21], v[14:15] op_sel:[0,0,1] op_sel_hi:[1,1,0]
	v_pk_fma_f32 v[6:7], v[6:7], v[20:21], v[14:15] op_sel:[0,0,1] op_sel_hi:[1,0,0] neg_lo:[0,0,1] neg_hi:[0,0,1]
	ds_read2_b64 v[14:17], v109 offset0:96 offset1:148
	s_waitcnt lgkmcnt(1)
	v_pk_mul_f32 v[18:19], v[10:11], v[26:27] op_sel:[0,1]
	v_mov_b32_e32 v67, v7
	v_pk_fma_f32 v[68:69], v[10:11], v[26:27], v[18:19] op_sel:[0,0,1] op_sel_hi:[1,1,0]
	v_pk_fma_f32 v[10:11], v[10:11], v[26:27], v[18:19] op_sel:[0,0,1] op_sel_hi:[1,0,0] neg_lo:[0,0,1] neg_hi:[0,0,1]
	ds_read2_b64 v[24:27], v102 offset0:104 offset1:156
	s_waitcnt lgkmcnt(1)
	v_pk_mul_f32 v[18:19], v[14:15], v[0:1] op_sel_hi:[1,0]
	v_mov_b32_e32 v69, v11
	v_pk_fma_f32 v[70:71], v[14:15], v[28:29], v[18:19] op_sel:[0,0,1] op_sel_hi:[1,1,0]
	v_pk_fma_f32 v[14:15], v[14:15], v[28:29], v[18:19] op_sel:[0,0,1] op_sel_hi:[1,0,0] neg_lo:[0,0,1] neg_hi:[0,0,1]
	ds_read2_b64 v[28:31], v104 offset0:80 offset1:132
	s_waitcnt lgkmcnt(1)
	v_mov_b32_e32 v0, v25
	s_waitcnt vmcnt(1)
	v_pk_mul_f32 v[18:19], v[74:75], v[24:25] op_sel_hi:[1,0]
	v_mov_b32_e32 v71, v15
	v_pk_fma_f32 v[72:73], v[74:75], v[0:1], v[18:19] op_sel:[1,0,0] op_sel_hi:[0,1,1]
	v_pk_fma_f32 v[88:89], v[74:75], v[24:25], v[18:19] op_sel:[1,1,0] op_sel_hi:[0,1,1] neg_lo:[0,0,1] neg_hi:[0,0,1]
	s_waitcnt lgkmcnt(0)
	v_pk_mul_f32 v[22:23], v[76:77], v[28:29] op_sel:[0,1]
	ds_read2_b64 v[18:21], v106 offset0:160 offset1:212
	v_pk_fma_f32 v[74:75], v[76:77], v[28:29], v[22:23] op_sel:[0,0,1] op_sel_hi:[1,1,0]
	v_pk_fma_f32 v[90:91], v[76:77], v[28:29], v[22:23] op_sel:[0,0,1] op_sel_hi:[1,0,0] neg_lo:[1,0,0] neg_hi:[1,0,0]
	ds_read2_b64 v[22:25], v106 offset0:56 offset1:108
	s_waitcnt vmcnt(0)
	v_mov_b32_e32 v0, v81
	s_waitcnt lgkmcnt(1)
	v_pk_mul_f32 v[76:77], v[18:19], v[0:1] op_sel_hi:[1,0]
	v_mov_b32_e32 v73, v89
	v_pk_fma_f32 v[28:29], v[18:19], v[80:81], v[76:77] op_sel:[0,0,1] op_sel_hi:[1,1,0]
	v_pk_fma_f32 v[18:19], v[18:19], v[80:81], v[76:77] op_sel:[0,0,1] op_sel_hi:[1,0,0] neg_lo:[0,0,1] neg_hi:[0,0,1]
	s_waitcnt lgkmcnt(0)
	v_pk_mul_f32 v[80:81], v[78:79], v[22:23] op_sel:[0,1]
	v_pk_add_f32 v[10:11], v[72:73], v[70:71] neg_lo:[0,1] neg_hi:[0,1]
	v_pk_fma_f32 v[76:77], v[78:79], v[22:23], v[80:81] op_sel:[0,0,1] op_sel_hi:[1,1,0]
	v_pk_fma_f32 v[22:23], v[78:79], v[22:23], v[80:81] op_sel:[0,0,1] op_sel_hi:[1,0,0] neg_lo:[1,0,0] neg_hi:[1,0,0]
	v_pk_add_f32 v[6:7], v[72:73], v[70:71]
	v_pk_mul_f32 v[0:1], v[10:11], s[36:37] op_sel_hi:[1,0]
	v_mov_b32_e32 v65, v3
	v_mov_b32_e32 v77, v23
	v_pk_fma_f32 v[22:23], v[6:7], s[22:23], v[0:1] op_sel:[0,0,1] op_sel_hi:[1,0,0]
	v_pk_fma_f32 v[78:79], v[6:7], s[22:23], v[0:1] op_sel:[0,0,1] op_sel_hi:[1,0,0] neg_lo:[0,0,1] neg_hi:[0,0,1]
	ds_read2_b64 v[0:3], v102 offset1:52
	v_mov_b32_e32 v75, v91
	v_mov_b32_e32 v29, v19
	v_pk_add_f32 v[18:19], v[74:75], v[68:69] neg_lo:[0,1] neg_hi:[0,1]
	v_pk_add_f32 v[14:15], v[74:75], v[68:69]
	v_pk_mul_f32 v[80:81], v[18:19], s[18:19] op_sel_hi:[1,0]
	v_mov_b32_e32 v129, v79
	v_pk_fma_f32 v[108:109], v[14:15], s[16:17], v[80:81] op_sel:[0,0,1] op_sel_hi:[1,0,0]
	v_pk_fma_f32 v[80:81], v[14:15], s[16:17], v[80:81] op_sel:[0,0,1] op_sel_hi:[1,0,0] neg_lo:[0,0,1] neg_hi:[0,0,1]
	v_mov_b32_e32 v79, v23
	s_waitcnt lgkmcnt(0)
	v_pk_add_f32 v[78:79], v[78:79], v[0:1]
	v_mov_b32_e32 v23, v81
	v_mov_b32_e32 v81, v109
	v_pk_add_f32 v[82:83], v[80:81], v[78:79]
	v_pk_add_f32 v[80:81], v[76:77], v[66:67] neg_lo:[0,1] neg_hi:[0,1]
	v_pk_add_f32 v[78:79], v[76:77], v[66:67]
	v_pk_mul_f32 v[84:85], v[80:81], s[44:45] op_sel_hi:[1,0]
	v_mov_b32_e32 v63, v87
	v_pk_fma_f32 v[130:131], v[78:79], s[14:15], v[84:85] op_sel:[0,0,1] op_sel_hi:[1,0,0]
	v_pk_fma_f32 v[84:85], v[78:79], s[14:15], v[84:85] op_sel:[0,0,1] op_sel_hi:[1,0,0] neg_lo:[0,0,1] neg_hi:[0,0,1]
	v_pk_mul_f32 v[112:113], v[18:19], s[24:25] op_sel_hi:[1,0]
	v_mov_b32_e32 v109, v85
	v_mov_b32_e32 v85, v131
	v_pk_add_f32 v[86:87], v[84:85], v[82:83]
	v_pk_add_f32 v[84:85], v[28:29], v[64:65] neg_lo:[0,1] neg_hi:[0,1]
	v_pk_add_f32 v[82:83], v[28:29], v[64:65]
	v_pk_mul_f32 v[88:89], v[84:85], s[34:35] op_sel_hi:[1,0]
	v_pk_fma_f32 v[140:141], v[14:15], s[14:15], v[112:113] op_sel:[0,0,1] op_sel_hi:[1,0,0]
	v_pk_fma_f32 v[132:133], v[82:83], s[12:13], v[88:89] op_sel:[0,0,1] op_sel_hi:[1,0,0]
	v_pk_fma_f32 v[88:89], v[82:83], s[12:13], v[88:89] op_sel:[0,0,1] op_sel_hi:[1,0,0] neg_lo:[0,0,1] neg_hi:[0,0,1]
	v_pk_fma_f32 v[112:113], v[14:15], s[14:15], v[112:113] op_sel:[0,0,1] op_sel_hi:[1,0,0] neg_lo:[0,0,1] neg_hi:[0,0,1]
	v_mov_b32_e32 v131, v89
	v_mov_b32_e32 v89, v133
	v_pk_add_f32 v[90:91], v[88:89], v[86:87]
	v_pk_add_f32 v[88:89], v[56:57], v[62:63] neg_lo:[0,1] neg_hi:[0,1]
	v_pk_add_f32 v[86:87], v[56:57], v[62:63]
	v_pk_mul_f32 v[92:93], v[88:89], s[28:29] op_sel_hi:[1,0]
	v_mov_b32_e32 v128, v22
	v_pk_fma_f32 v[134:135], v[86:87], s[4:5], v[92:93] op_sel:[0,0,1] op_sel_hi:[1,0,0]
	v_pk_fma_f32 v[92:93], v[86:87], s[4:5], v[92:93] op_sel:[0,0,1] op_sel_hi:[1,0,0] neg_lo:[0,0,1] neg_hi:[0,0,1]
	v_mov_b32_e32 v22, v108
	v_mov_b32_e32 v133, v93
	;; [unrolled: 1-line block ×3, first 2 shown]
	v_pk_add_f32 v[96:97], v[92:93], v[90:91]
	v_pk_add_f32 v[92:93], v[58:59], v[60:61] neg_lo:[0,1] neg_hi:[0,1]
	v_pk_add_f32 v[90:91], v[58:59], v[60:61]
	v_pk_mul_f32 v[98:99], v[92:93], s[26:27] op_sel_hi:[1,0]
	v_mov_b32_e32 v108, v130
	v_pk_fma_f32 v[136:137], v[90:91], s[20:21], v[98:99] op_sel:[0,0,1] op_sel_hi:[1,0,0]
	v_pk_fma_f32 v[98:99], v[90:91], s[20:21], v[98:99] op_sel:[0,0,1] op_sel_hi:[1,0,0] neg_lo:[0,0,1] neg_hi:[0,0,1]
	v_mov_b32_e32 v130, v132
	v_mov_b32_e32 v135, v99
	v_mov_b32_e32 v99, v137
	v_pk_add_f32 v[96:97], v[98:99], v[96:97]
	v_pk_mul_f32 v[98:99], v[10:11], s[28:29] op_sel_hi:[1,0]
	v_mov_b32_e32 v132, v134
	v_pk_fma_f32 v[138:139], v[6:7], s[4:5], v[98:99] op_sel:[0,0,1] op_sel_hi:[1,0,0]
	v_pk_fma_f32 v[98:99], v[6:7], s[4:5], v[98:99] op_sel:[0,0,1] op_sel_hi:[1,0,0] neg_lo:[0,0,1] neg_hi:[0,0,1]
	v_mov_b32_e32 v142, v138
	v_mov_b32_e32 v143, v99
	;; [unrolled: 1-line block ×3, first 2 shown]
	v_pk_add_f32 v[98:99], v[98:99], v[0:1]
	v_mov_b32_e32 v139, v113
	v_mov_b32_e32 v113, v141
	v_pk_add_f32 v[98:99], v[112:113], v[98:99]
	v_pk_mul_f32 v[112:113], v[80:81], s[18:19] op_sel_hi:[1,0]
	v_mov_b32_e32 v138, v140
	v_pk_fma_f32 v[144:145], v[78:79], s[16:17], v[112:113] op_sel:[0,0,1] op_sel_hi:[1,0,0]
	v_pk_fma_f32 v[112:113], v[78:79], s[16:17], v[112:113] op_sel:[0,0,1] op_sel_hi:[1,0,0] neg_lo:[0,0,1] neg_hi:[0,0,1]
	v_mov_b32_e32 v140, v144
	v_mov_b32_e32 v141, v113
	;; [unrolled: 1-line block ×3, first 2 shown]
	v_pk_add_f32 v[98:99], v[112:113], v[98:99]
	v_pk_mul_f32 v[112:113], v[84:85], s[42:43] op_sel_hi:[1,0]
	v_mov_b32_e32 v134, v136
	v_pk_fma_f32 v[146:147], v[82:83], s[20:21], v[112:113] op_sel:[0,0,1] op_sel_hi:[1,0,0]
	v_pk_fma_f32 v[112:113], v[82:83], s[20:21], v[112:113] op_sel:[0,0,1] op_sel_hi:[1,0,0] neg_lo:[0,0,1] neg_hi:[0,0,1]
	v_mov_b32_e32 v144, v146
	v_mov_b32_e32 v145, v113
	;; [unrolled: 1-line block ×3, first 2 shown]
	v_pk_add_f32 v[98:99], v[112:113], v[98:99]
	v_pk_mul_f32 v[112:113], v[88:89], s[30:31] op_sel_hi:[1,0]
	s_mov_b32 s45, s14
	v_pk_fma_f32 v[148:149], v[86:87], s[22:23], v[112:113] op_sel:[0,0,1] op_sel_hi:[1,0,0]
	v_pk_fma_f32 v[112:113], v[86:87], s[22:23], v[112:113] op_sel:[0,0,1] op_sel_hi:[1,0,0] neg_lo:[0,0,1] neg_hi:[0,0,1]
	v_mov_b32_e32 v146, v148
	v_mov_b32_e32 v147, v113
	;; [unrolled: 1-line block ×3, first 2 shown]
	v_pk_add_f32 v[98:99], v[112:113], v[98:99]
	v_pk_mul_f32 v[112:113], v[92:93], s[34:35] op_sel_hi:[1,0]
	s_nop 0
	v_pk_fma_f32 v[150:151], v[90:91], s[12:13], v[112:113] op_sel:[0,0,1] op_sel_hi:[1,0,0]
	v_pk_fma_f32 v[112:113], v[90:91], s[12:13], v[112:113] op_sel:[0,0,1] op_sel_hi:[1,0,0] neg_lo:[0,0,1] neg_hi:[0,0,1]
	v_mov_b32_e32 v148, v150
	v_mov_b32_e32 v149, v113
	;; [unrolled: 1-line block ×3, first 2 shown]
	v_pk_add_f32 v[98:99], v[112:113], v[98:99]
	global_load_dwordx4 v[112:115], v94, s[8:9] offset:192
	global_load_dwordx4 v[116:119], v94, s[8:9] offset:272
	;; [unrolled: 1-line block ×4, first 2 shown]
	v_add_u32_e32 v94, 0x800, v54
	s_waitcnt lgkmcnt(0)
	; wave barrier
	ds_write2_b64 v94, v[96:97], v[98:99] offset0:4 offset1:30
	v_mov_b32_e32 v98, v31
	v_mov_b32_e32 v99, v27
	s_waitcnt vmcnt(3)
	v_pk_mul_f32 v[94:95], v[30:31], v[114:115]
	v_mov_b32_e32 v31, v26
	v_pk_mul_f32 v[96:97], v[26:27], v[112:113]
	v_mov_b32_e32 v27, v112
	v_mov_b32_e32 v112, v115
	v_pk_mul_f32 v[30:31], v[30:31], v[112:113]
	v_mov_b32_e32 v26, v114
	v_pk_fma_f32 v[30:31], v[98:99], v[26:27], v[30:31] neg_lo:[0,0,1] neg_hi:[0,0,1]
	v_mov_b32_e32 v26, v13
	v_mov_b32_e32 v27, v17
	s_waitcnt vmcnt(2)
	v_pk_mul_f32 v[98:99], v[12:13], v[116:117]
	v_mov_b32_e32 v13, v16
	v_pk_mul_f32 v[16:17], v[16:17], v[118:119]
	v_mov_b32_e32 v113, v118
	v_mov_b32_e32 v118, v117
	v_pk_mul_f32 v[12:13], v[12:13], v[118:119]
	v_mov_b32_e32 v112, v116
	v_pk_fma_f32 v[26:27], v[26:27], v[112:113], v[12:13] neg_lo:[0,0,1] neg_hi:[0,0,1]
	v_mov_b32_e32 v12, v21
	v_mov_b32_e32 v13, v25
	s_waitcnt vmcnt(1)
	v_mul_f32_e32 v112, v21, v123
	v_mov_b32_e32 v21, v24
	v_pk_mul_f32 v[24:25], v[24:25], v[120:121]
	v_mov_b32_e32 v115, v120
	v_mov_b32_e32 v120, v123
	v_mul_f32_e32 v116, v20, v122
	v_pk_mul_f32 v[20:21], v[20:21], v[120:121]
	v_mov_b32_e32 v114, v122
	v_pk_fma_f32 v[12:13], v[12:13], v[114:115], v[20:21] neg_lo:[0,0,1] neg_hi:[0,0,1]
	v_mov_b32_e32 v20, v5
	v_mov_b32_e32 v21, v9
	s_waitcnt vmcnt(0)
	v_mul_f32_e32 v114, v5, v125
	v_mov_b32_e32 v5, v8
	v_pk_mul_f32 v[8:9], v[8:9], v[126:127]
	v_mov_b32_e32 v119, v126
	v_mov_b32_e32 v126, v125
	v_mul_f32_e32 v120, v4, v124
	v_pk_mul_f32 v[4:5], v[4:5], v[126:127]
	v_mov_b32_e32 v118, v124
	v_pk_fma_f32 v[20:21], v[20:21], v[118:119], v[4:5] neg_lo:[0,0,1] neg_hi:[0,0,1]
	v_pk_add_f32 v[4:5], v[72:73], v[0:1]
	v_mov_b32_e32 v117, v24
	v_pk_add_f32 v[4:5], v[4:5], v[74:75]
	v_mov_b32_e32 v113, v25
	;; [unrolled: 2-line block ×3, first 2 shown]
	v_pk_add_f32 v[4:5], v[4:5], v[28:29]
	v_pk_mul_f32 v[28:29], v[10:11], s[46:47] op_sel_hi:[1,0]
	v_pk_add_f32 v[4:5], v[4:5], v[56:57]
	v_pk_fma_f32 v[56:57], v[6:7], s[12:13], v[28:29] op_sel:[0,0,1] op_sel_hi:[1,0,0]
	v_pk_add_f32 v[4:5], v[4:5], v[58:59]
	v_pk_fma_f32 v[28:29], v[6:7], s[12:13], v[28:29] op_sel:[0,0,1] op_sel_hi:[1,0,0] neg_lo:[0,0,1] neg_hi:[0,0,1]
	v_pk_add_f32 v[4:5], v[4:5], v[60:61]
	v_pk_mul_f32 v[60:61], v[18:19], s[28:29] op_sel_hi:[1,0]
	v_pk_add_f32 v[4:5], v[4:5], v[62:63]
	v_mov_b32_e32 v58, v56
	v_mov_b32_e32 v59, v29
	v_pk_fma_f32 v[62:63], v[14:15], s[4:5], v[60:61] op_sel:[0,0,1] op_sel_hi:[1,0,0]
	v_pk_fma_f32 v[60:61], v[14:15], s[4:5], v[60:61] op_sel:[0,0,1] op_sel_hi:[1,0,0] neg_lo:[0,0,1] neg_hi:[0,0,1]
	v_pk_add_f32 v[4:5], v[4:5], v[64:65]
	v_pk_add_f32 v[58:59], v[58:59], v[0:1]
	v_mov_b32_e32 v64, v62
	v_mov_b32_e32 v65, v61
	v_pk_add_f32 v[58:59], v[64:65], v[58:59]
	v_pk_mul_f32 v[64:65], v[80:81], s[36:37] op_sel_hi:[1,0]
	v_pk_add_f32 v[4:5], v[4:5], v[66:67]
	v_pk_fma_f32 v[66:67], v[78:79], s[22:23], v[64:65] op_sel:[0,0,1] op_sel_hi:[1,0,0]
	v_pk_fma_f32 v[64:65], v[78:79], s[22:23], v[64:65] op_sel:[0,0,1] op_sel_hi:[1,0,0] neg_lo:[0,0,1] neg_hi:[0,0,1]
	v_pk_add_f32 v[4:5], v[4:5], v[68:69]
	v_mov_b32_e32 v68, v66
	v_mov_b32_e32 v69, v65
	v_pk_add_f32 v[58:59], v[68:69], v[58:59]
	v_pk_mul_f32 v[68:69], v[84:85], s[24:25] op_sel_hi:[1,0]
	v_pk_add_f32 v[4:5], v[4:5], v[70:71]
	v_pk_fma_f32 v[70:71], v[82:83], s[14:15], v[68:69] op_sel:[0,0,1] op_sel_hi:[1,0,0]
	v_pk_fma_f32 v[68:69], v[82:83], s[14:15], v[68:69] op_sel:[0,0,1] op_sel_hi:[1,0,0] neg_lo:[0,0,1] neg_hi:[0,0,1]
	v_mov_b32_e32 v72, v70
	v_mov_b32_e32 v73, v69
	v_pk_add_f32 v[58:59], v[72:73], v[58:59]
	v_pk_mul_f32 v[72:73], v[88:89], s[26:27] op_sel_hi:[1,0]
	v_mov_b32_e32 v29, v57
	v_pk_fma_f32 v[74:75], v[86:87], s[20:21], v[72:73] op_sel:[0,0,1] op_sel_hi:[1,0,0]
	v_pk_fma_f32 v[72:73], v[86:87], s[20:21], v[72:73] op_sel:[0,0,1] op_sel_hi:[1,0,0] neg_lo:[0,0,1] neg_hi:[0,0,1]
	v_mov_b32_e32 v76, v74
	v_mov_b32_e32 v77, v73
	v_pk_add_f32 v[58:59], v[76:77], v[58:59]
	v_pk_mul_f32 v[76:77], v[92:93], s[18:19] op_sel_hi:[1,0]
	v_mov_b32_e32 v61, v63
	v_pk_fma_f32 v[118:119], v[90:91], s[16:17], v[76:77] op_sel:[0,0,1] op_sel_hi:[1,0,0]
	v_pk_fma_f32 v[76:77], v[90:91], s[16:17], v[76:77] op_sel:[0,0,1] op_sel_hi:[1,0,0] neg_lo:[0,0,1] neg_hi:[0,0,1]
	v_mov_b32_e32 v122, v118
	v_mov_b32_e32 v123, v77
	v_pk_add_f32 v[58:59], v[122:123], v[58:59]
	ds_write2_b64 v54, v[4:5], v[58:59] offset1:26
	v_pk_add_f32 v[4:5], v[142:143], v[0:1]
	v_pk_add_f32 v[58:59], v[128:129], v[0:1]
	;; [unrolled: 1-line block ×12, first 2 shown]
	ds_write2_b64 v54, v[4:5], v[22:23] offset0:52 offset1:78
	v_pk_mul_f32 v[4:5], v[10:11], s[24:25] op_sel_hi:[1,0]
	v_pk_mul_f32 v[108:109], v[18:19], s[42:43] op_sel_hi:[1,0]
	v_pk_fma_f32 v[22:23], v[6:7], s[14:15], v[4:5] op_sel:[0,0,1] op_sel_hi:[1,0,0]
	v_pk_fma_f32 v[4:5], v[6:7], s[14:15], v[4:5] op_sel:[0,0,1] op_sel_hi:[1,0,0] neg_lo:[0,0,1] neg_hi:[0,0,1]
	v_mov_b32_e32 v58, v22
	v_mov_b32_e32 v59, v5
	v_pk_fma_f32 v[122:123], v[14:15], s[20:21], v[108:109] op_sel:[0,0,1] op_sel_hi:[1,0,0]
	v_pk_fma_f32 v[108:109], v[14:15], s[20:21], v[108:109] op_sel:[0,0,1] op_sel_hi:[1,0,0] neg_lo:[0,0,1] neg_hi:[0,0,1]
	v_pk_add_f32 v[58:59], v[58:59], v[0:1]
	v_mov_b32_e32 v124, v122
	v_mov_b32_e32 v125, v109
	v_pk_add_f32 v[58:59], v[124:125], v[58:59]
	v_pk_mul_f32 v[124:125], v[80:81], s[34:35] op_sel_hi:[1,0]
	v_pk_mul_f32 v[146:147], v[18:19], s[30:31] op_sel_hi:[1,0]
	v_pk_fma_f32 v[126:127], v[78:79], s[12:13], v[124:125] op_sel:[0,0,1] op_sel_hi:[1,0,0]
	v_pk_fma_f32 v[124:125], v[78:79], s[12:13], v[124:125] op_sel:[0,0,1] op_sel_hi:[1,0,0] neg_lo:[0,0,1] neg_hi:[0,0,1]
	v_mov_b32_e32 v128, v126
	v_mov_b32_e32 v129, v125
	v_pk_add_f32 v[58:59], v[128:129], v[58:59]
	v_pk_mul_f32 v[128:129], v[84:85], s[36:37] op_sel_hi:[1,0]
	v_pk_fma_f32 v[148:149], v[14:15], s[22:23], v[146:147] op_sel:[0,0,1] op_sel_hi:[1,0,0]
	v_pk_fma_f32 v[130:131], v[82:83], s[22:23], v[128:129] op_sel:[0,0,1] op_sel_hi:[1,0,0]
	v_pk_fma_f32 v[128:129], v[82:83], s[22:23], v[128:129] op_sel:[0,0,1] op_sel_hi:[1,0,0] neg_lo:[0,0,1] neg_hi:[0,0,1]
	v_mov_b32_e32 v132, v130
	v_mov_b32_e32 v133, v129
	v_pk_add_f32 v[58:59], v[132:133], v[58:59]
	v_pk_mul_f32 v[132:133], v[88:89], s[40:41] op_sel_hi:[1,0]
	v_pk_fma_f32 v[146:147], v[14:15], s[22:23], v[146:147] op_sel:[0,0,1] op_sel_hi:[1,0,0] neg_lo:[0,0,1] neg_hi:[0,0,1]
	v_pk_fma_f32 v[134:135], v[86:87], s[16:17], v[132:133] op_sel:[0,0,1] op_sel_hi:[1,0,0]
	v_pk_fma_f32 v[132:133], v[86:87], s[16:17], v[132:133] op_sel:[0,0,1] op_sel_hi:[1,0,0] neg_lo:[0,0,1] neg_hi:[0,0,1]
	v_mov_b32_e32 v136, v134
	v_mov_b32_e32 v137, v133
	v_pk_add_f32 v[58:59], v[136:137], v[58:59]
	v_pk_mul_f32 v[136:137], v[92:93], s[38:39] op_sel_hi:[1,0]
	v_mov_b32_e32 v150, v148
	v_pk_fma_f32 v[138:139], v[90:91], s[4:5], v[136:137] op_sel:[0,0,1] op_sel_hi:[1,0,0]
	v_pk_fma_f32 v[136:137], v[90:91], s[4:5], v[136:137] op_sel:[0,0,1] op_sel_hi:[1,0,0] neg_lo:[0,0,1] neg_hi:[0,0,1]
	v_mov_b32_e32 v140, v138
	v_mov_b32_e32 v141, v137
	v_pk_add_f32 v[58:59], v[140:141], v[58:59]
	v_pk_mul_f32 v[140:141], v[10:11], s[26:27] op_sel_hi:[1,0]
	v_mov_b32_e32 v151, v147
	v_pk_fma_f32 v[142:143], v[6:7], s[20:21], v[140:141] op_sel:[0,0,1] op_sel_hi:[1,0,0]
	v_pk_fma_f32 v[140:141], v[6:7], s[20:21], v[140:141] op_sel:[0,0,1] op_sel_hi:[1,0,0] neg_lo:[0,0,1] neg_hi:[0,0,1]
	v_mov_b32_e32 v144, v142
	v_mov_b32_e32 v145, v141
	v_pk_add_f32 v[144:145], v[144:145], v[0:1]
	v_pk_mul_f32 v[10:11], v[10:11], s[18:19] op_sel_hi:[1,0]
	v_pk_add_f32 v[144:145], v[150:151], v[144:145]
	v_pk_mul_f32 v[150:151], v[80:81], s[28:29] op_sel_hi:[1,0]
	v_pk_mul_f32 v[80:81], v[80:81], s[26:27] op_sel_hi:[1,0]
	v_pk_fma_f32 v[152:153], v[78:79], s[4:5], v[150:151] op_sel:[0,0,1] op_sel_hi:[1,0,0]
	v_pk_fma_f32 v[150:151], v[78:79], s[4:5], v[150:151] op_sel:[0,0,1] op_sel_hi:[1,0,0] neg_lo:[0,0,1] neg_hi:[0,0,1]
	v_mov_b32_e32 v154, v152
	v_mov_b32_e32 v155, v151
	v_pk_add_f32 v[144:145], v[154:155], v[144:145]
	v_pk_mul_f32 v[154:155], v[84:85], s[40:41] op_sel_hi:[1,0]
	v_mov_b32_e32 v141, v143
	v_pk_fma_f32 v[156:157], v[82:83], s[16:17], v[154:155] op_sel:[0,0,1] op_sel_hi:[1,0,0]
	v_pk_fma_f32 v[154:155], v[82:83], s[16:17], v[154:155] op_sel:[0,0,1] op_sel_hi:[1,0,0] neg_lo:[0,0,1] neg_hi:[0,0,1]
	v_mov_b32_e32 v158, v156
	v_mov_b32_e32 v159, v155
	v_pk_add_f32 v[144:145], v[158:159], v[144:145]
	v_pk_mul_f32 v[158:159], v[88:89], s[34:35] op_sel_hi:[1,0]
	v_mov_b32_e32 v5, v23
	v_pk_fma_f32 v[160:161], v[86:87], s[12:13], v[158:159] op_sel:[0,0,1] op_sel_hi:[1,0,0]
	v_pk_fma_f32 v[158:159], v[86:87], s[12:13], v[158:159] op_sel:[0,0,1] op_sel_hi:[1,0,0] neg_lo:[0,0,1] neg_hi:[0,0,1]
	v_mov_b32_e32 v162, v160
	v_mov_b32_e32 v163, v159
	v_pk_add_f32 v[144:145], v[162:163], v[144:145]
	v_pk_mul_f32 v[162:163], v[92:93], s[24:25] op_sel_hi:[1,0]
	v_mov_b32_e32 v147, v149
	v_pk_fma_f32 v[164:165], v[90:91], s[14:15], v[162:163] op_sel:[0,0,1] op_sel_hi:[1,0,0]
	v_pk_fma_f32 v[162:163], v[90:91], s[14:15], v[162:163] op_sel:[0,0,1] op_sel_hi:[1,0,0] neg_lo:[0,0,1] neg_hi:[0,0,1]
	v_mov_b32_e32 v166, v164
	v_mov_b32_e32 v167, v163
	v_pk_add_f32 v[144:145], v[166:167], v[144:145]
	ds_write2_b64 v54, v[58:59], v[144:145] offset0:104 offset1:130
	v_pk_fma_f32 v[58:59], v[6:7], s[16:17], v[10:11] op_sel:[0,0,1] op_sel_hi:[1,0,0]
	v_pk_fma_f32 v[6:7], v[6:7], s[16:17], v[10:11] op_sel:[0,0,1] op_sel_hi:[1,0,0] neg_lo:[0,0,1] neg_hi:[0,0,1]
	v_pk_mul_f32 v[10:11], v[18:19], s[34:35] op_sel_hi:[1,0]
	v_mov_b32_e32 v109, v123
	v_pk_fma_f32 v[18:19], v[14:15], s[12:13], v[10:11] op_sel:[0,0,1] op_sel_hi:[1,0,0]
	v_pk_fma_f32 v[10:11], v[14:15], s[12:13], v[10:11] op_sel:[0,0,1] op_sel_hi:[1,0,0] neg_lo:[0,0,1] neg_hi:[0,0,1]
	v_mov_b32_e32 v14, v58
	v_mov_b32_e32 v15, v7
	v_pk_add_f32 v[14:15], v[14:15], v[0:1]
	v_mov_b32_e32 v144, v18
	v_mov_b32_e32 v145, v11
	v_pk_add_f32 v[14:15], v[144:145], v[14:15]
	v_pk_fma_f32 v[144:145], v[78:79], s[20:21], v[80:81] op_sel:[0,0,1] op_sel_hi:[1,0,0]
	v_pk_fma_f32 v[78:79], v[78:79], s[20:21], v[80:81] op_sel:[0,0,1] op_sel_hi:[1,0,0] neg_lo:[0,0,1] neg_hi:[0,0,1]
	v_mov_b32_e32 v80, v144
	v_mov_b32_e32 v81, v79
	v_pk_add_f32 v[14:15], v[80:81], v[14:15]
	v_pk_mul_f32 v[80:81], v[84:85], s[38:39] op_sel_hi:[1,0]
	v_mov_b32_e32 v7, v59
	v_pk_fma_f32 v[84:85], v[82:83], s[4:5], v[80:81] op_sel:[0,0,1] op_sel_hi:[1,0,0]
	v_pk_fma_f32 v[80:81], v[82:83], s[4:5], v[80:81] op_sel:[0,0,1] op_sel_hi:[1,0,0] neg_lo:[0,0,1] neg_hi:[0,0,1]
	v_mov_b32_e32 v82, v84
	v_mov_b32_e32 v83, v81
	v_pk_add_f32 v[14:15], v[82:83], v[14:15]
	v_pk_mul_f32 v[82:83], v[88:89], s[24:25] op_sel_hi:[1,0]
	v_mov_b32_e32 v11, v19
	v_pk_fma_f32 v[88:89], v[86:87], s[14:15], v[82:83] op_sel:[0,0,1] op_sel_hi:[1,0,0]
	v_pk_fma_f32 v[82:83], v[86:87], s[14:15], v[82:83] op_sel:[0,0,1] op_sel_hi:[1,0,0] neg_lo:[0,0,1] neg_hi:[0,0,1]
	v_pk_add_f32 v[6:7], v[6:7], v[0:1]
	v_mov_b32_e32 v86, v88
	v_mov_b32_e32 v87, v83
	v_pk_add_f32 v[6:7], v[10:11], v[6:7]
	v_mov_b32_e32 v79, v145
	v_pk_add_f32 v[14:15], v[86:87], v[14:15]
	v_pk_mul_f32 v[86:87], v[92:93], s[30:31] op_sel_hi:[1,0]
	v_pk_add_f32 v[6:7], v[78:79], v[6:7]
	v_mov_b32_e32 v81, v85
	v_pk_fma_f32 v[92:93], v[90:91], s[22:23], v[86:87] op_sel:[0,0,1] op_sel_hi:[1,0,0]
	v_pk_fma_f32 v[86:87], v[90:91], s[22:23], v[86:87] op_sel:[0,0,1] op_sel_hi:[1,0,0] neg_lo:[0,0,1] neg_hi:[0,0,1]
	v_pk_add_f32 v[6:7], v[80:81], v[6:7]
	v_mov_b32_e32 v83, v89
	v_mov_b32_e32 v90, v92
	;; [unrolled: 1-line block ×3, first 2 shown]
	v_pk_add_f32 v[6:7], v[82:83], v[6:7]
	v_mov_b32_e32 v87, v93
	v_pk_add_f32 v[14:15], v[90:91], v[14:15]
	v_pk_add_f32 v[6:7], v[86:87], v[6:7]
	ds_write2_b64 v54, v[14:15], v[6:7] offset0:156 offset1:182
	v_pk_add_f32 v[6:7], v[140:141], v[0:1]
	v_pk_add_f32 v[4:5], v[4:5], v[0:1]
	;; [unrolled: 1-line block ×3, first 2 shown]
	v_mov_b32_e32 v151, v153
	v_pk_add_f32 v[4:5], v[108:109], v[4:5]
	v_mov_b32_e32 v125, v127
	v_pk_add_f32 v[6:7], v[150:151], v[6:7]
	;; [unrolled: 2-line block ×8, first 2 shown]
	v_pk_add_f32 v[4:5], v[136:137], v[4:5]
	v_pk_add_f32 v[0:1], v[28:29], v[0:1]
	ds_write2_b64 v54, v[6:7], v[4:5] offset0:208 offset1:234
	v_mov_b32_e32 v4, v94
	v_mov_b32_e32 v5, v96
	v_mov_b32_e32 v96, v95
	v_pk_add_f32 v[0:1], v[60:61], v[0:1]
	v_mov_b32_e32 v65, v67
	v_pk_add_f32 v[18:19], v[4:5], v[96:97]
	v_mov_b32_e32 v4, v98
	v_mov_b32_e32 v5, v16
	;; [unrolled: 1-line block ×4, first 2 shown]
	v_pk_add_f32 v[0:1], v[64:65], v[0:1]
	v_mov_b32_e32 v69, v71
	v_pk_add_f32 v[22:23], v[4:5], v[16:17]
	v_pk_add_f32 v[24:25], v[116:117], v[112:113]
	;; [unrolled: 1-line block ×4, first 2 shown]
	v_mov_b32_e32 v73, v75
	v_pk_add_f32 v[6:7], v[72:73], v[0:1]
	v_pk_add_f32 v[0:1], v[24:25], v[4:5]
	v_pk_add_f32 v[56:57], v[12:13], v[20:21] neg_lo:[0,1] neg_hi:[0,1]
	v_pk_add_f32 v[58:59], v[12:13], v[20:21]
	v_pk_add_f32 v[28:29], v[24:25], v[4:5] neg_lo:[0,1] neg_hi:[0,1]
	v_mov_b32_e32 v62, v4
	v_mov_b32_e32 v63, v20
	v_mov_b32_e32 v20, v5
	v_pk_add_f32 v[4:5], v[38:39], v[46:47]
	v_pk_add_f32 v[8:9], v[38:39], v[46:47] neg_lo:[0,1] neg_hi:[0,1]
	v_pk_add_f32 v[14:15], v[36:37], v[44:45]
	v_mov_b32_e32 v5, v8
	v_mov_b32_e32 v9, v8
	;; [unrolled: 1-line block ×4, first 2 shown]
	v_pk_mul_f32 v[10:11], v[8:9], s[2:3]
	v_pk_add_f32 v[6:7], v[76:77], v[6:7]
	v_mov_b32_e32 v61, v13
	v_pk_add_f32 v[66:67], v[34:35], v[42:43]
	v_mov_b32_e32 v13, v10
	s_mov_b32 s46, s16
	s_mov_b32 s47, s20
	ds_write_b64 v54, v[6:7] offset:2496
	v_pk_add_f32 v[6:7], v[34:35], v[42:43] neg_lo:[0,1] neg_hi:[0,1]
	v_mov_b32_e32 v43, v41
	v_pk_add_f32 v[68:69], v[32:33], v[40:41] neg_lo:[0,1] neg_hi:[0,1]
	v_pk_add_f32 v[16:17], v[32:33], v[40:41]
	v_pk_fma_f32 v[10:11], v[8:9], s[2:3], v[12:13] neg_lo:[1,0,0] neg_hi:[1,0,0]
	v_pk_mul_f32 v[40:41], v[66:67], s[46:47]
	v_mov_b32_e32 v64, v38
	v_mov_b32_e32 v65, v37
	;; [unrolled: 1-line block ×3, first 2 shown]
	v_pk_add_f32 v[38:39], v[36:37], v[44:45] neg_lo:[0,1] neg_hi:[0,1]
	v_mov_b32_e32 v36, v34
	v_mov_b32_e32 v37, v33
	;; [unrolled: 1-line block ×4, first 2 shown]
	v_pk_add_f32 v[34:35], v[30:31], v[26:27] neg_lo:[0,1] neg_hi:[0,1]
	v_pk_add_f32 v[44:45], v[30:31], v[26:27]
	v_mov_b32_e32 v26, v23
	v_pk_add_f32 v[10:11], v[18:19], v[22:23]
	v_pk_add_f32 v[70:71], v[18:19], v[22:23] neg_lo:[0,1] neg_hi:[0,1]
	v_mov_b32_e32 v23, v30
	v_mov_b32_e32 v30, v19
	;; [unrolled: 1-line block ×4, first 2 shown]
	v_pk_add_f32 v[30:31], v[30:31], v[2:3]
	v_mov_b32_e32 v60, v25
	v_pk_add_f32 v[22:23], v[30:31], v[22:23]
	v_mov_b32_e32 v25, v12
	v_pk_mul_f32 v[72:73], v[34:35], s[28:29]
	v_pk_add_f32 v[22:23], v[22:23], v[60:61]
	v_pk_fma_f32 v[18:19], v[10:11], s[4:5], v[72:73]
	v_pk_add_f32 v[22:23], v[22:23], v[24:25]
	v_mov_b32_e32 v12, v19
	v_pk_add_f32 v[22:23], v[22:23], v[64:65]
	v_pk_add_f32 v[74:75], v[12:13], v[2:3]
	;; [unrolled: 1-line block ×4, first 2 shown]
	v_pk_mul_f32 v[74:75], v[70:71], s[28:29]
	v_pk_add_f32 v[22:23], v[22:23], v[42:43]
	v_pk_fma_f32 v[76:77], v[44:45], s[4:5], v[74:75] neg_lo:[0,0,1] neg_hi:[0,0,1]
	v_pk_add_f32 v[22:23], v[22:23], v[46:47]
	v_pk_add_f32 v[78:79], v[76:77], v[2:3]
	;; [unrolled: 1-line block ×3, first 2 shown]
	v_mov_b32_e32 v12, v79
	v_pk_mul_f32 v[78:79], v[56:57], s[24:25]
	v_pk_add_f32 v[20:21], v[22:23], v[20:21]
	v_pk_mul_f32 v[60:61], v[4:5], s[22:23]
	v_pk_fma_f32 v[80:81], v[0:1], s[14:15], v[78:79]
	v_pk_mul_f32 v[82:83], v[28:29], s[24:25]
	v_pk_add_f32 v[20:21], v[20:21], v[32:33]
	v_pk_fma_f32 v[22:23], v[38:39], s[30:31], v[60:61] op_sel:[1,0,0] neg_lo:[1,0,0] neg_hi:[1,0,0]
	v_mov_b32_e32 v38, v69
	v_pk_add_f32 v[76:77], v[76:77], v[12:13]
	v_mov_b32_e32 v12, v81
	v_pk_fma_f32 v[84:85], v[58:59], s[14:15], v[82:83] neg_lo:[0,0,1] neg_hi:[0,0,1]
	v_pk_add_f32 v[20:21], v[20:21], v[26:27]
	v_mov_b32_e32 v24, v66
	v_mov_b32_e32 v25, v4
	v_pk_mul_f32 v[26:27], v[38:39], s[48:49]
	v_pk_add_f32 v[18:19], v[12:13], v[18:19]
	v_mov_b32_e32 v12, v85
	v_mov_b32_e32 v7, v17
	v_pk_fma_f32 v[30:31], v[24:25], s[46:47], v[26:27]
	v_pk_add_f32 v[76:77], v[12:13], v[76:77]
	v_pk_add_f32 v[18:19], v[80:81], v[18:19]
	v_mov_b32_e32 v12, v31
	v_pk_mul_f32 v[32:33], v[6:7], s[18:19]
	v_pk_add_f32 v[30:31], v[12:13], v[18:19]
	v_mov_b32_e32 v19, v32
	v_pk_add_f32 v[76:77], v[84:85], v[76:77]
	v_pk_fma_f32 v[18:19], v[6:7], s[18:19], v[18:19] neg_lo:[0,0,1] neg_hi:[0,0,1]
	v_mov_b32_e32 v12, 3
	v_mov_b32_e32 v31, v19
	v_pk_fma_f32 v[18:19], v[24:25], s[46:47], v[26:27] neg_lo:[0,0,1] neg_hi:[0,0,1]
	v_mov_b32_e32 v27, v76
	v_pk_add_f32 v[24:25], v[40:41], v[26:27]
	v_lshlrev_b32_sdwa v12, v12, v110 dst_sel:DWORD dst_unused:UNUSED_PAD src0_sel:DWORD src1_sel:BYTE_0
	v_mul_u32_u24_e32 v14, 0xa90, v101
	v_pk_add_f32 v[24:25], v[24:25], v[30:31]
	v_add3_u32 v33, 0, v14, v12
	v_mov_b32_e32 v86, v35
	v_mov_b32_e32 v87, v45
	s_mov_b32 s29, s4
	ds_write2_b64 v33, v[20:21], v[24:25] offset1:26
	v_pk_fma_f32 v[20:21], v[0:1], s[14:15], v[78:79] neg_lo:[0,0,1] neg_hi:[0,0,1]
	v_mov_b32_e32 v30, v1
	v_mov_b32_e32 v31, v29
	;; [unrolled: 1-line block ×4, first 2 shown]
	v_pk_fma_f32 v[24:25], v[44:45], s[4:5], v[74:75]
	v_pk_fma_f32 v[28:29], v[10:11], s[4:5], v[72:73] neg_lo:[0,0,1] neg_hi:[0,0,1]
	v_mov_b32_e32 v36, v11
	v_mov_b32_e32 v37, v71
	s_mov_b32 s5, s28
	v_pk_mul_f32 v[38:39], v[86:87], s[28:29]
	v_mov_b32_e32 v35, v44
	v_pk_fma_f32 v[40:41], v[36:37], s[4:5], v[38:39]
	v_pk_fma_f32 v[42:43], v[36:37], s[4:5], v[38:39] neg_lo:[1,0,0] neg_hi:[1,0,0]
	s_mov_b32 s25, s14
	v_mov_b32_e32 v42, v40
	v_mov_b32_e32 v11, v70
	v_pk_fma_f32 v[26:27], v[58:59], s[14:15], v[82:83]
	v_pk_add_f32 v[46:47], v[42:43], v[2:3]
	s_mov_b32 s15, s24
	v_pk_mul_f32 v[42:43], v[34:35], s[24:25]
	v_mov_b32_e32 v88, v57
	v_pk_fma_f32 v[44:45], v[10:11], s[14:15], v[42:43]
	v_pk_fma_f32 v[62:63], v[10:11], s[14:15], v[42:43] neg_lo:[1,0,0] neg_hi:[1,0,0]
	v_mov_b32_e32 v89, v59
	v_mov_b32_e32 v62, v44
	;; [unrolled: 1-line block ×3, first 2 shown]
	v_pk_mul_f32 v[64:65], v[30:31], s[16:17]
	v_pk_add_f32 v[62:63], v[62:63], v[46:47]
	v_pk_fma_f32 v[46:47], v[12:13], s[18:19], v[64:65] neg_lo:[1,0,0] neg_hi:[1,0,0]
	v_pk_fma_f32 v[70:71], v[88:89], s[18:19], v[64:65]
	v_pk_fma_f32 v[64:65], v[88:89], s[18:19], v[64:65] neg_lo:[0,0,1] neg_hi:[0,0,1]
	v_mov_b32_e32 v91, v58
	v_mov_b32_e32 v90, v56
	v_pk_mul_f32 v[58:59], v[0:1], s[20:21]
	v_mov_b32_e32 v47, v71
	v_mov_b32_e32 v71, v65
	v_pk_fma_f32 v[56:57], v[56:57], s[42:43], v[58:59] neg_lo:[1,0,0] neg_hi:[1,0,0]
	v_pk_fma_f32 v[64:65], v[90:91], s[42:43], v[58:59]
	v_pk_fma_f32 v[58:59], v[90:91], s[42:43], v[58:59] neg_lo:[0,0,1] neg_hi:[0,0,1]
	v_pk_add_f32 v[62:63], v[70:71], v[62:63]
	v_mov_b32_e32 v57, v65
	v_mov_b32_e32 v65, v59
	v_pk_add_f32 v[58:59], v[64:65], v[62:63]
	v_pk_fma_f32 v[62:63], v[14:15], s[30:31], v[60:61]
	v_pk_fma_f32 v[60:61], v[14:15], s[30:31], v[60:61] neg_lo:[0,0,1] neg_hi:[0,0,1]
	v_mov_b32_e32 v23, v63
	v_mov_b32_e32 v63, v61
	v_pk_add_f32 v[62:63], v[62:63], v[58:59]
	v_mov_b32_e32 v58, v66
	v_mov_b32_e32 v59, v6
	;; [unrolled: 1-line block ×3, first 2 shown]
	v_pk_mul_f32 v[64:65], v[58:59], s[12:13]
	s_mov_b32 s37, s22
	v_pk_fma_f32 v[60:61], v[68:69], s[34:35], v[64:65] op_sel:[1,0,0] neg_lo:[1,0,0] neg_hi:[1,0,0]
	v_pk_fma_f32 v[66:67], v[16:17], s[34:35], v[64:65]
	v_pk_fma_f32 v[64:65], v[16:17], s[34:35], v[64:65] neg_lo:[0,0,1] neg_hi:[0,0,1]
	v_mov_b32_e32 v61, v67
	v_mov_b32_e32 v67, v65
	s_mov_b32 s46, s22
	s_mov_b32 s47, s36
	v_pk_mul_f32 v[64:65], v[86:87], s[36:37]
	v_pk_add_f32 v[92:93], v[66:67], v[62:63]
	v_pk_fma_f32 v[62:63], v[36:37], s[46:47], v[64:65]
	v_pk_fma_f32 v[70:71], v[36:37], s[46:47], v[64:65] neg_lo:[1,0,0] neg_hi:[1,0,0]
	v_pk_mul_f32 v[68:69], v[34:35], s[18:19]
	v_mov_b32_e32 v70, v62
	v_pk_fma_f32 v[66:67], v[10:11], s[16:17], v[68:69]
	v_pk_fma_f32 v[72:73], v[10:11], s[16:17], v[68:69] neg_lo:[1,0,0] neg_hi:[1,0,0]
	v_pk_add_f32 v[70:71], v[70:71], v[2:3]
	v_mov_b32_e32 v72, v66
	v_pk_add_f32 v[74:75], v[72:73], v[70:71]
	s_mov_b32 s48, s14
	s_mov_b32 s49, s44
	v_pk_mul_f32 v[72:73], v[88:89], s[44:45]
	s_mov_b32 s27, s20
	v_pk_fma_f32 v[70:71], v[30:31], s[48:49], v[72:73]
	v_pk_fma_f32 v[76:77], v[30:31], s[48:49], v[72:73] neg_lo:[1,0,0] neg_hi:[1,0,0]
	v_pk_mul_f32 v[98:99], v[34:35], s[42:43]
	v_mov_b32_e32 v76, v70
	v_pk_add_f32 v[78:79], v[76:77], v[74:75]
	v_pk_mul_f32 v[76:77], v[90:91], s[34:35]
	v_pk_fma_f32 v[108:109], v[10:11], s[20:21], v[98:99]
	v_pk_fma_f32 v[74:75], v[0:1], s[12:13], v[76:77]
	v_pk_fma_f32 v[80:81], v[0:1], s[12:13], v[76:77] neg_lo:[1,0,0] neg_hi:[1,0,0]
	v_pk_fma_f32 v[110:111], v[10:11], s[20:21], v[98:99] neg_lo:[1,0,0] neg_hi:[1,0,0]
	v_mov_b32_e32 v80, v74
	v_pk_add_f32 v[82:83], v[80:81], v[78:79]
	v_pk_mul_f32 v[80:81], v[14:15], s[28:29]
	v_mov_b32_e32 v110, v108
	v_pk_fma_f32 v[78:79], v[4:5], s[4:5], v[80:81]
	v_pk_fma_f32 v[84:85], v[4:5], s[4:5], v[80:81] neg_lo:[1,0,0] neg_hi:[1,0,0]
	s_mov_b32 s41, s16
	v_mov_b32_e32 v84, v78
	v_pk_add_f32 v[94:95], v[84:85], v[82:83]
	v_pk_mul_f32 v[84:85], v[16:17], s[26:27]
	s_mov_b32 s39, s4
	v_pk_fma_f32 v[82:83], v[58:59], s[2:3], v[84:85]
	v_pk_fma_f32 v[96:97], v[58:59], s[2:3], v[84:85] neg_lo:[1,0,0] neg_hi:[1,0,0]
	s_mov_b32 s42, s4
	v_mov_b32_e32 v96, v82
	v_pk_add_f32 v[94:95], v[96:97], v[94:95]
	ds_write2_b64 v33, v[92:93], v[94:95] offset0:52 offset1:78
	v_pk_mul_f32 v[92:93], v[86:87], s[24:25]
	s_mov_b32 s43, s38
	v_pk_fma_f32 v[94:95], v[36:37], s[14:15], v[92:93]
	v_pk_fma_f32 v[96:97], v[36:37], s[14:15], v[92:93] neg_lo:[1,0,0] neg_hi:[1,0,0]
	v_pk_mul_f32 v[132:133], v[34:35], s[30:31]
	v_mov_b32_e32 v96, v94
	v_pk_add_f32 v[96:97], v[96:97], v[2:3]
	v_pk_fma_f32 v[134:135], v[10:11], s[22:23], v[132:133]
	v_pk_add_f32 v[96:97], v[110:111], v[96:97]
	v_pk_mul_f32 v[110:111], v[88:89], s[34:35]
	v_pk_fma_f32 v[136:137], v[10:11], s[22:23], v[132:133] neg_lo:[1,0,0] neg_hi:[1,0,0]
	v_pk_fma_f32 v[112:113], v[30:31], s[12:13], v[110:111]
	v_pk_fma_f32 v[114:115], v[30:31], s[12:13], v[110:111] neg_lo:[1,0,0] neg_hi:[1,0,0]
	v_mov_b32_e32 v136, v134
	v_mov_b32_e32 v114, v112
	v_pk_add_f32 v[96:97], v[114:115], v[96:97]
	v_pk_mul_f32 v[114:115], v[90:91], s[36:37]
	s_mov_b32 s36, s16
	v_pk_fma_f32 v[116:117], v[0:1], s[46:47], v[114:115]
	v_pk_fma_f32 v[118:119], v[0:1], s[46:47], v[114:115] neg_lo:[1,0,0] neg_hi:[1,0,0]
	s_mov_b32 s37, s40
	v_mov_b32_e32 v118, v116
	v_pk_add_f32 v[96:97], v[118:119], v[96:97]
	v_pk_mul_f32 v[118:119], v[14:15], s[40:41]
	v_pk_mul_f32 v[34:35], v[34:35], s[34:35]
	v_pk_fma_f32 v[120:121], v[4:5], s[36:37], v[118:119]
	v_pk_fma_f32 v[122:123], v[4:5], s[36:37], v[118:119] neg_lo:[1,0,0] neg_hi:[1,0,0]
	v_pk_fma_f32 v[154:155], v[10:11], s[12:13], v[34:35] neg_lo:[1,0,0] neg_hi:[1,0,0]
	v_mov_b32_e32 v122, v120
	v_pk_add_f32 v[96:97], v[122:123], v[96:97]
	v_pk_mul_f32 v[122:123], v[16:17], s[38:39]
	v_pk_fma_f32 v[8:9], v[8:9], s[2:3], v[12:13]
	v_pk_fma_f32 v[124:125], v[58:59], s[42:43], v[122:123]
	v_pk_fma_f32 v[126:127], v[58:59], s[42:43], v[122:123] neg_lo:[1,0,0] neg_hi:[1,0,0]
	v_mov_b32_e32 v13, v32
	v_mov_b32_e32 v126, v124
	v_pk_add_f32 v[96:97], v[126:127], v[96:97]
	v_pk_mul_f32 v[126:127], v[86:87], s[26:27]
	v_pk_mul_f32 v[86:87], v[86:87], s[18:19]
	v_pk_fma_f32 v[128:129], v[36:37], s[2:3], v[126:127]
	v_pk_fma_f32 v[130:131], v[36:37], s[2:3], v[126:127] neg_lo:[1,0,0] neg_hi:[1,0,0]
	v_pk_fma_f32 v[6:7], v[6:7], s[18:19], v[12:13]
	v_mov_b32_e32 v130, v128
	v_pk_add_f32 v[130:131], v[130:131], v[2:3]
	v_pk_fma_f32 v[12:13], v[36:37], s[4:5], v[38:39] neg_lo:[0,0,1] neg_hi:[0,0,1]
	v_pk_add_f32 v[130:131], v[136:137], v[130:131]
	v_pk_mul_f32 v[136:137], v[88:89], s[28:29]
	v_pk_mul_f32 v[88:89], v[88:89], s[26:27]
	v_pk_fma_f32 v[138:139], v[30:31], s[4:5], v[136:137]
	v_pk_fma_f32 v[140:141], v[30:31], s[4:5], v[136:137] neg_lo:[1,0,0] neg_hi:[1,0,0]
	v_pk_fma_f32 v[156:157], v[30:31], s[2:3], v[88:89] neg_lo:[1,0,0] neg_hi:[1,0,0]
	v_mov_b32_e32 v140, v138
	v_pk_add_f32 v[130:131], v[140:141], v[130:131]
	v_pk_mul_f32 v[140:141], v[90:91], s[40:41]
	v_pk_mul_f32 v[90:91], v[90:91], s[38:39]
	v_pk_fma_f32 v[142:143], v[0:1], s[36:37], v[140:141]
	v_pk_fma_f32 v[144:145], v[0:1], s[36:37], v[140:141] neg_lo:[1,0,0] neg_hi:[1,0,0]
	v_pk_fma_f32 v[158:159], v[0:1], s[42:43], v[90:91] neg_lo:[1,0,0] neg_hi:[1,0,0]
	v_mov_b32_e32 v144, v142
	;; [unrolled: 7-line block ×4, first 2 shown]
	v_pk_add_f32 v[130:131], v[152:153], v[130:131]
	ds_write2_b64 v33, v[96:97], v[130:131] offset0:104 offset1:130
	v_pk_fma_f32 v[96:97], v[36:37], s[16:17], v[86:87]
	v_pk_fma_f32 v[130:131], v[36:37], s[16:17], v[86:87] neg_lo:[1,0,0] neg_hi:[1,0,0]
	v_pk_fma_f32 v[152:153], v[10:11], s[12:13], v[34:35]
	v_mov_b32_e32 v130, v96
	v_mov_b32_e32 v154, v152
	v_pk_add_f32 v[130:131], v[130:131], v[2:3]
	v_pk_fma_f32 v[86:87], v[36:37], s[16:17], v[86:87] neg_lo:[0,0,1] neg_hi:[0,0,1]
	v_pk_add_f32 v[130:131], v[154:155], v[130:131]
	v_pk_fma_f32 v[154:155], v[30:31], s[2:3], v[88:89]
	v_mov_b32_e32 v87, v97
	v_mov_b32_e32 v156, v154
	v_pk_add_f32 v[130:131], v[156:157], v[130:131]
	v_pk_fma_f32 v[156:157], v[0:1], s[42:43], v[90:91]
	v_pk_fma_f32 v[34:35], v[10:11], s[12:13], v[34:35] neg_lo:[0,0,1] neg_hi:[0,0,1]
	v_mov_b32_e32 v158, v156
	v_mov_b32_e32 v35, v153
	v_pk_fma_f32 v[88:89], v[30:31], s[2:3], v[88:89] neg_lo:[0,0,1] neg_hi:[0,0,1]
	v_pk_add_f32 v[86:87], v[86:87], v[2:3]
	v_pk_add_f32 v[130:131], v[158:159], v[130:131]
	v_pk_fma_f32 v[158:159], v[4:5], s[14:15], v[14:15]
	v_mov_b32_e32 v89, v155
	v_pk_fma_f32 v[90:91], v[0:1], s[42:43], v[90:91] neg_lo:[0,0,1] neg_hi:[0,0,1]
	v_pk_add_f32 v[34:35], v[34:35], v[86:87]
	v_mov_b32_e32 v160, v158
	v_mov_b32_e32 v91, v157
	v_pk_fma_f32 v[14:15], v[4:5], s[14:15], v[14:15] neg_lo:[0,0,1] neg_hi:[0,0,1]
	v_pk_add_f32 v[34:35], v[88:89], v[34:35]
	v_pk_add_f32 v[130:131], v[160:161], v[130:131]
	v_pk_fma_f32 v[160:161], v[58:59], s[22:23], v[16:17]
	v_mov_b32_e32 v15, v159
	v_pk_fma_f32 v[16:17], v[58:59], s[22:23], v[16:17] neg_lo:[0,0,1] neg_hi:[0,0,1]
	v_pk_add_f32 v[34:35], v[90:91], v[34:35]
	v_mov_b32_e32 v162, v160
	v_mov_b32_e32 v17, v161
	v_pk_add_f32 v[14:15], v[14:15], v[34:35]
	v_pk_add_f32 v[130:131], v[162:163], v[130:131]
	;; [unrolled: 1-line block ×3, first 2 shown]
	ds_write2_b64 v33, v[130:131], v[14:15] offset0:156 offset1:182
	v_pk_fma_f32 v[14:15], v[36:37], s[2:3], v[126:127] neg_lo:[0,0,1] neg_hi:[0,0,1]
	v_pk_fma_f32 v[16:17], v[10:11], s[22:23], v[132:133] neg_lo:[0,0,1] neg_hi:[0,0,1]
	v_mov_b32_e32 v15, v129
	v_mov_b32_e32 v17, v135
	v_pk_fma_f32 v[34:35], v[30:31], s[4:5], v[136:137] neg_lo:[0,0,1] neg_hi:[0,0,1]
	v_pk_add_f32 v[14:15], v[14:15], v[2:3]
	v_mov_b32_e32 v35, v139
	v_pk_fma_f32 v[86:87], v[0:1], s[36:37], v[140:141] neg_lo:[0,0,1] neg_hi:[0,0,1]
	v_pk_add_f32 v[14:15], v[16:17], v[14:15]
	v_pk_fma_f32 v[16:17], v[36:37], s[14:15], v[92:93] neg_lo:[0,0,1] neg_hi:[0,0,1]
	v_mov_b32_e32 v87, v143
	v_pk_fma_f32 v[88:89], v[4:5], s[12:13], v[144:145] neg_lo:[0,0,1] neg_hi:[0,0,1]
	v_pk_add_f32 v[14:15], v[34:35], v[14:15]
	v_mov_b32_e32 v17, v95
	v_pk_fma_f32 v[34:35], v[10:11], s[20:21], v[98:99] neg_lo:[0,0,1] neg_hi:[0,0,1]
	v_mov_b32_e32 v89, v147
	v_pk_fma_f32 v[90:91], v[58:59], s[14:15], v[148:149] neg_lo:[0,0,1] neg_hi:[0,0,1]
	v_pk_add_f32 v[14:15], v[86:87], v[14:15]
	v_mov_b32_e32 v35, v109
	v_pk_fma_f32 v[86:87], v[30:31], s[12:13], v[110:111] neg_lo:[0,0,1] neg_hi:[0,0,1]
	v_pk_add_f32 v[16:17], v[16:17], v[2:3]
	v_mov_b32_e32 v91, v151
	v_pk_add_f32 v[14:15], v[88:89], v[14:15]
	v_mov_b32_e32 v87, v113
	v_pk_fma_f32 v[88:89], v[0:1], s[46:47], v[114:115] neg_lo:[0,0,1] neg_hi:[0,0,1]
	v_pk_add_f32 v[16:17], v[34:35], v[16:17]
	v_pk_add_f32 v[14:15], v[90:91], v[14:15]
	v_mov_b32_e32 v89, v117
	v_pk_fma_f32 v[90:91], v[4:5], s[36:37], v[118:119] neg_lo:[0,0,1] neg_hi:[0,0,1]
	v_pk_add_f32 v[16:17], v[86:87], v[16:17]
	v_mov_b32_e32 v91, v121
	v_pk_fma_f32 v[92:93], v[58:59], s[42:43], v[122:123] neg_lo:[0,0,1] neg_hi:[0,0,1]
	v_pk_add_f32 v[16:17], v[88:89], v[16:17]
	v_mov_b32_e32 v93, v125
	v_pk_add_f32 v[16:17], v[90:91], v[16:17]
	v_mov_b32_e32 v13, v41
	v_pk_add_f32 v[16:17], v[92:93], v[16:17]
	ds_write2_b64 v33, v[14:15], v[16:17] offset0:208 offset1:234
	v_pk_fma_f32 v[14:15], v[10:11], s[14:15], v[42:43] neg_lo:[0,0,1] neg_hi:[0,0,1]
	v_pk_add_f32 v[12:13], v[12:13], v[2:3]
	v_mov_b32_e32 v15, v45
	v_pk_add_f32 v[12:13], v[14:15], v[12:13]
	v_pk_fma_f32 v[10:11], v[10:11], s[16:17], v[68:69] neg_lo:[0,0,1] neg_hi:[0,0,1]
	v_pk_add_f32 v[12:13], v[46:47], v[12:13]
	v_mov_b32_e32 v11, v67
	v_pk_add_f32 v[12:13], v[56:57], v[12:13]
	;; [unrolled: 4-line block ×3, first 2 shown]
	v_pk_fma_f32 v[12:13], v[36:37], s[46:47], v[64:65] neg_lo:[0,0,1] neg_hi:[0,0,1]
	v_pk_fma_f32 v[0:1], v[0:1], s[12:13], v[76:77] neg_lo:[0,0,1] neg_hi:[0,0,1]
	v_mov_b32_e32 v13, v63
	v_pk_add_f32 v[12:13], v[12:13], v[2:3]
	v_mov_b32_e32 v1, v75
	v_pk_add_f32 v[10:11], v[10:11], v[12:13]
	v_pk_fma_f32 v[4:5], v[4:5], s[4:5], v[80:81] neg_lo:[0,0,1] neg_hi:[0,0,1]
	v_pk_add_f32 v[10:11], v[14:15], v[10:11]
	v_mov_b32_e32 v5, v79
	v_pk_fma_f32 v[16:17], v[58:59], s[2:3], v[84:85] neg_lo:[0,0,1] neg_hi:[0,0,1]
	v_pk_add_f32 v[0:1], v[0:1], v[10:11]
	v_mov_b32_e32 v17, v83
	v_pk_add_f32 v[0:1], v[4:5], v[0:1]
	v_add_u32_e32 v4, 0x800, v33
	v_pk_add_f32 v[0:1], v[16:17], v[0:1]
	ds_write2_b64 v4, v[0:1], v[56:57] offset0:4 offset1:30
	v_mov_b32_e32 v0, v29
	v_mov_b32_e32 v1, v25
	v_pk_add_f32 v[0:1], v[0:1], v[2:3]
	v_mov_b32_e32 v29, v24
	v_pk_add_f32 v[0:1], v[28:29], v[0:1]
	v_mov_b32_e32 v2, v21
	v_mov_b32_e32 v3, v27
	v_pk_add_f32 v[0:1], v[2:3], v[0:1]
	v_mov_b32_e32 v21, v26
	v_pk_add_f32 v[0:1], v[20:21], v[0:1]
	;; [unrolled: 2-line block ×4, first 2 shown]
	v_add_u32_e32 v64, 0x1c00, v102
	ds_write_b64 v33, v[58:59] offset:2496
	s_waitcnt lgkmcnt(0)
	; wave barrier
	s_waitcnt lgkmcnt(0)
	ds_read2_b64 v[32:35], v102 offset1:52
	ds_read2_b64 v[36:39], v106 offset0:82 offset1:134
	ds_read2_b64 v[40:43], v51 offset0:164 offset1:216
	;; [unrolled: 1-line block ×11, first 2 shown]
                                        ; implicit-def: $vgpr63
                                        ; implicit-def: $vgpr61
	s_and_saveexec_b64 s[2:3], vcc
	s_cbranch_execz .LBB0_21
; %bb.20:
	ds_read_b64 v[56:57], v102 offset:2496
	ds_read_b64 v[58:59], v102 offset:5200
	;; [unrolled: 1-line block ×4, first 2 shown]
	v_mov_b32_e32 v100, v107
.LBB0_21:
	s_or_b64 exec, exec, s[2:3]
	v_mul_u32_u24_e32 v54, 3, v50
	v_lshlrev_b32_e32 v54, 3, v54
	global_load_dwordx4 v[66:69], v54, s[8:9] offset:2688
	global_load_dwordx2 v[90:91], v54, s[8:9] offset:2704
	global_load_dwordx4 v[70:73], v54, s[8:9] offset:3936
	global_load_dwordx2 v[92:93], v54, s[8:9] offset:3952
	s_mov_b64 s[2:3], 0x4e0
	v_lshl_add_u64 v[82:83], s[8:9], 0, v[54:55]
	v_lshl_add_u64 v[78:79], v[82:83], 0, s[2:3]
	global_load_dwordx4 v[74:77], v[78:79], off offset:3936
	global_load_dwordx2 v[94:95], v[78:79], off offset:3952
	v_add_u32_e32 v65, 0x1380, v54
	v_add_u32_e32 v101, 0x1860, v54
	v_add_co_u32_e64 v54, s[2:3], s33, v82
	s_mov_b64 s[4:5], 0x1920
	s_nop 0
	v_addc_co_u32_e64 v55, s[2:3], 0, v83, s[2:3]
	global_load_dwordx4 v[78:81], v[54:55], off offset:2336
	v_lshl_add_u64 v[54:55], v[82:83], 0, s[4:5]
	global_load_dwordx2 v[96:97], v65, s[8:9] offset:2704
	global_load_dwordx4 v[82:85], v65, s[8:9] offset:2688
	global_load_dwordx2 v[98:99], v101, s[8:9] offset:2704
	global_load_dwordx4 v[86:89], v101, s[8:9] offset:2688
	global_load_dwordx2 v[108:109], v[54:55], off offset:16
	s_waitcnt lgkmcnt(0)
	; wave barrier
	s_waitcnt vmcnt(11) lgkmcnt(0)
	v_pk_mul_f32 v[54:55], v[66:67], v[36:37] op_sel:[0,1]
	v_pk_mul_f32 v[110:111], v[68:69], v[40:41] op_sel:[0,1]
	s_waitcnt vmcnt(10)
	v_pk_mul_f32 v[112:113], v[90:91], v[44:45] op_sel:[0,1]
	s_waitcnt vmcnt(9)
	v_pk_mul_f32 v[114:115], v[70:71], v[38:39] op_sel:[0,1]
	v_pk_mul_f32 v[116:117], v[72:73], v[42:43] op_sel:[0,1]
	s_waitcnt vmcnt(8)
	v_pk_mul_f32 v[118:119], v[92:93], v[46:47] op_sel:[0,1]
	v_pk_fma_f32 v[120:121], v[66:67], v[36:37], v[54:55] op_sel:[0,0,1] op_sel_hi:[1,1,0]
	v_pk_fma_f32 v[36:37], v[66:67], v[36:37], v[54:55] op_sel:[0,0,1] op_sel_hi:[1,0,0] neg_lo:[1,0,0] neg_hi:[1,0,0]
	v_pk_fma_f32 v[54:55], v[68:69], v[40:41], v[110:111] op_sel:[0,0,1] op_sel_hi:[1,1,0]
	v_pk_fma_f32 v[40:41], v[68:69], v[40:41], v[110:111] op_sel:[0,0,1] op_sel_hi:[1,0,0] neg_lo:[1,0,0] neg_hi:[1,0,0]
	;; [unrolled: 2-line block ×6, first 2 shown]
	v_mov_b32_e32 v121, v37
	v_mov_b32_e32 v55, v41
	;; [unrolled: 1-line block ×6, first 2 shown]
	s_waitcnt vmcnt(7)
	v_pk_mul_f32 v[36:37], v[74:75], v[28:29] op_sel:[0,1]
	v_mov_b32_e32 v38, v77
	s_waitcnt vmcnt(6)
	v_pk_mul_f32 v[40:41], v[20:21], v[94:95] op_sel:[0,1]
	v_pk_add_f32 v[42:43], v[32:33], v[54:55] neg_lo:[0,1] neg_hi:[0,1]
	v_pk_add_f32 v[44:45], v[120:121], v[66:67] neg_lo:[0,1] neg_hi:[0,1]
	;; [unrolled: 1-line block ×4, first 2 shown]
	v_pk_fma_f32 v[66:67], v[74:75], v[28:29], v[36:37] op_sel:[0,0,1] op_sel_hi:[1,1,0]
	v_pk_fma_f32 v[28:29], v[74:75], v[28:29], v[36:37] op_sel:[0,0,1] op_sel_hi:[1,0,0] neg_lo:[1,0,0] neg_hi:[1,0,0]
	v_pk_mul_f32 v[36:37], v[24:25], v[38:39] op_sel_hi:[1,0]
	v_pk_fma_f32 v[38:39], v[20:21], v[94:95], v[40:41] op_sel:[0,0,1] op_sel_hi:[1,1,0]
	v_pk_fma_f32 v[20:21], v[20:21], v[94:95], v[40:41] op_sel:[0,0,1] op_sel_hi:[1,0,0] neg_lo:[0,0,1] neg_hi:[0,0,1]
	v_pk_fma_f32 v[32:33], v[32:33], 2.0, v[42:43] op_sel_hi:[1,0,1] neg_lo:[0,0,1] neg_hi:[0,0,1]
	v_pk_fma_f32 v[40:41], v[120:121], 2.0, v[44:45] op_sel_hi:[1,0,1] neg_lo:[0,0,1] neg_hi:[0,0,1]
	;; [unrolled: 1-line block ×4, first 2 shown]
	v_mov_b32_e32 v67, v29
	v_pk_fma_f32 v[28:29], v[24:25], v[76:77], v[36:37] op_sel:[0,0,1] op_sel_hi:[1,1,0]
	v_pk_fma_f32 v[24:25], v[24:25], v[76:77], v[36:37] op_sel:[0,0,1] op_sel_hi:[1,0,0] neg_lo:[0,0,1] neg_hi:[0,0,1]
	v_mov_b32_e32 v39, v21
	v_pk_add_f32 v[20:21], v[42:43], v[44:45] op_sel:[0,1] op_sel_hi:[1,0]
	v_pk_add_f32 v[36:37], v[42:43], v[44:45] op_sel:[0,1] op_sel_hi:[1,0] neg_lo:[0,1] neg_hi:[0,1]
	v_pk_add_f32 v[44:45], v[46:47], v[54:55] op_sel:[0,1] op_sel_hi:[1,0]
	v_pk_add_f32 v[54:55], v[46:47], v[54:55] op_sel:[0,1] op_sel_hi:[1,0] neg_lo:[0,1] neg_hi:[0,1]
	v_pk_add_f32 v[40:41], v[32:33], v[40:41] neg_lo:[0,1] neg_hi:[0,1]
	v_pk_add_f32 v[68:69], v[34:35], v[68:69] neg_lo:[0,1] neg_hi:[0,1]
	v_mov_b32_e32 v29, v25
	v_mov_b32_e32 v21, v37
	;; [unrolled: 1-line block ×3, first 2 shown]
	v_pk_fma_f32 v[32:33], v[32:33], 2.0, v[40:41] op_sel_hi:[1,0,1] neg_lo:[0,0,1] neg_hi:[0,0,1]
	v_pk_fma_f32 v[34:35], v[34:35], 2.0, v[68:69] op_sel_hi:[1,0,1] neg_lo:[0,0,1] neg_hi:[0,0,1]
	v_pk_add_f32 v[24:25], v[66:67], v[38:39] neg_lo:[0,1] neg_hi:[0,1]
	v_pk_add_f32 v[28:29], v[16:17], v[28:29] neg_lo:[0,1] neg_hi:[0,1]
	v_pk_fma_f32 v[38:39], v[42:43], 2.0, v[20:21] op_sel_hi:[1,0,1] neg_lo:[0,0,1] neg_hi:[0,0,1]
	ds_write2_b64 v102, v[32:33], v[34:35] offset1:52
	v_pk_fma_f32 v[34:35], v[46:47], 2.0, v[44:45] op_sel_hi:[1,0,1] neg_lo:[0,0,1] neg_hi:[0,0,1]
	v_pk_fma_f32 v[36:37], v[66:67], 2.0, v[24:25] op_sel_hi:[1,0,1] neg_lo:[0,0,1] neg_hi:[0,0,1]
	ds_write2_b64 v106, v[38:39], v[34:35] offset0:82 offset1:134
	ds_write2_b64 v51, v[40:41], v[68:69] offset0:164 offset1:216
	;; [unrolled: 1-line block ×3, first 2 shown]
	v_pk_add_f32 v[20:21], v[28:29], v[24:25] op_sel:[0,1] op_sel_hi:[1,0]
	v_pk_add_f32 v[24:25], v[28:29], v[24:25] op_sel:[0,1] op_sel_hi:[1,0] neg_lo:[0,1] neg_hi:[0,1]
	v_pk_fma_f32 v[16:17], v[16:17], 2.0, v[28:29] op_sel_hi:[1,0,1] neg_lo:[0,0,1] neg_hi:[0,0,1]
	v_mov_b32_e32 v21, v25
	v_pk_fma_f32 v[24:25], v[28:29], 2.0, v[20:21] op_sel_hi:[1,0,1] neg_lo:[0,0,1] neg_hi:[0,0,1]
	s_waitcnt vmcnt(5)
	v_pk_mul_f32 v[28:29], v[30:31], v[78:79] op_sel:[0,1]
	v_pk_add_f32 v[32:33], v[16:17], v[36:37] neg_lo:[0,1] neg_hi:[0,1]
	v_pk_fma_f32 v[34:35], v[30:31], v[78:79], v[28:29] op_sel:[0,0,1] op_sel_hi:[1,1,0]
	v_pk_fma_f32 v[28:29], v[30:31], v[78:79], v[28:29] op_sel:[0,0,1] op_sel_hi:[1,0,0] neg_lo:[0,0,1] neg_hi:[0,0,1]
	v_pk_fma_f32 v[16:17], v[16:17], 2.0, v[32:33] op_sel_hi:[1,0,1] neg_lo:[0,0,1] neg_hi:[0,0,1]
	v_mov_b32_e32 v28, v81
	v_mov_b32_e32 v35, v29
	v_pk_mul_f32 v[28:29], v[26:27], v[28:29] op_sel_hi:[1,0]
	s_nop 0
	v_pk_fma_f32 v[30:31], v[26:27], v[80:81], v[28:29] op_sel:[0,0,1] op_sel_hi:[1,1,0]
	v_pk_fma_f32 v[26:27], v[26:27], v[80:81], v[28:29] op_sel:[0,0,1] op_sel_hi:[1,0,0] neg_lo:[0,0,1] neg_hi:[0,0,1]
	s_nop 0
	v_mov_b32_e32 v31, v27
	s_waitcnt vmcnt(0)
	v_pk_mul_f32 v[26:27], v[22:23], v[108:109] op_sel:[0,1]
	s_nop 0
	v_pk_fma_f32 v[28:29], v[22:23], v[108:109], v[26:27] op_sel:[0,0,1] op_sel_hi:[1,1,0]
	v_pk_fma_f32 v[22:23], v[22:23], v[108:109], v[26:27] op_sel:[0,0,1] op_sel_hi:[1,0,0] neg_lo:[0,0,1] neg_hi:[0,0,1]
	s_nop 0
	v_mov_b32_e32 v29, v23
	v_pk_add_f32 v[22:23], v[18:19], v[30:31] neg_lo:[0,1] neg_hi:[0,1]
	v_pk_add_f32 v[26:27], v[34:35], v[28:29] neg_lo:[0,1] neg_hi:[0,1]
	v_pk_fma_f32 v[18:19], v[18:19], 2.0, v[22:23] op_sel_hi:[1,0,1] neg_lo:[0,0,1] neg_hi:[0,0,1]
	v_pk_fma_f32 v[28:29], v[34:35], 2.0, v[26:27] op_sel_hi:[1,0,1] neg_lo:[0,0,1] neg_hi:[0,0,1]
	s_nop 0
	v_pk_add_f32 v[28:29], v[18:19], v[28:29] neg_lo:[0,1] neg_hi:[0,1]
	s_nop 0
	v_pk_fma_f32 v[18:19], v[18:19], 2.0, v[28:29] op_sel_hi:[1,0,1] neg_lo:[0,0,1] neg_hi:[0,0,1]
	ds_write2_b64 v102, v[16:17], v[18:19] offset0:104 offset1:156
	v_pk_add_f32 v[16:17], v[22:23], v[26:27] op_sel:[0,1] op_sel_hi:[1,0]
	v_pk_add_f32 v[18:19], v[22:23], v[26:27] op_sel:[0,1] op_sel_hi:[1,0] neg_lo:[0,1] neg_hi:[0,1]
	s_nop 0
	v_mov_b32_e32 v17, v19
	v_pk_fma_f32 v[18:19], v[22:23], 2.0, v[16:17] op_sel_hi:[1,0,1] neg_lo:[0,0,1] neg_hi:[0,0,1]
	ds_write2_b64 v106, v[24:25], v[18:19] offset0:186 offset1:238
	ds_write2_b64 v103, v[32:33], v[28:29] offset0:12 offset1:64
	;; [unrolled: 1-line block ×3, first 2 shown]
	v_pk_mul_f32 v[16:17], v[8:9], v[82:83] op_sel:[0,1]
	s_nop 0
	v_pk_fma_f32 v[18:19], v[8:9], v[82:83], v[16:17] op_sel:[0,0,1] op_sel_hi:[1,1,0]
	v_pk_fma_f32 v[8:9], v[8:9], v[82:83], v[16:17] op_sel:[0,0,1] op_sel_hi:[1,0,0] neg_lo:[0,0,1] neg_hi:[0,0,1]
	s_nop 0
	v_mov_b32_e32 v8, v85
	v_mov_b32_e32 v19, v9
	v_pk_mul_f32 v[8:9], v[12:13], v[8:9] op_sel_hi:[1,0]
	s_nop 0
	v_pk_fma_f32 v[16:17], v[12:13], v[84:85], v[8:9] op_sel:[0,0,1] op_sel_hi:[1,1,0]
	v_pk_fma_f32 v[8:9], v[12:13], v[84:85], v[8:9] op_sel:[0,0,1] op_sel_hi:[1,0,0] neg_lo:[0,0,1] neg_hi:[0,0,1]
	s_nop 0
	v_mov_b32_e32 v17, v9
	v_pk_mul_f32 v[8:9], v[4:5], v[96:97] op_sel:[0,1]
	s_nop 0
	v_pk_fma_f32 v[12:13], v[4:5], v[96:97], v[8:9] op_sel:[0,0,1] op_sel_hi:[1,1,0]
	v_pk_fma_f32 v[4:5], v[4:5], v[96:97], v[8:9] op_sel:[0,0,1] op_sel_hi:[1,0,0] neg_lo:[0,0,1] neg_hi:[0,0,1]
	s_nop 0
	v_mov_b32_e32 v13, v5
	v_pk_add_f32 v[4:5], v[0:1], v[16:17] neg_lo:[0,1] neg_hi:[0,1]
	v_pk_add_f32 v[8:9], v[18:19], v[12:13] neg_lo:[0,1] neg_hi:[0,1]
	v_pk_fma_f32 v[0:1], v[0:1], 2.0, v[4:5] op_sel_hi:[1,0,1] neg_lo:[0,0,1] neg_hi:[0,0,1]
	v_pk_fma_f32 v[12:13], v[18:19], 2.0, v[8:9] op_sel_hi:[1,0,1] neg_lo:[0,0,1] neg_hi:[0,0,1]
	v_pk_add_f32 v[16:17], v[4:5], v[8:9] op_sel:[0,1] op_sel_hi:[1,0]
	v_pk_add_f32 v[8:9], v[4:5], v[8:9] op_sel:[0,1] op_sel_hi:[1,0] neg_lo:[0,1] neg_hi:[0,1]
	v_pk_add_f32 v[12:13], v[0:1], v[12:13] neg_lo:[0,1] neg_hi:[0,1]
	v_mov_b32_e32 v17, v9
	v_pk_mul_f32 v[8:9], v[10:11], v[86:87] op_sel:[0,1]
	v_pk_fma_f32 v[0:1], v[0:1], 2.0, v[12:13] op_sel_hi:[1,0,1] neg_lo:[0,0,1] neg_hi:[0,0,1]
	v_pk_fma_f32 v[18:19], v[10:11], v[86:87], v[8:9] op_sel:[0,0,1] op_sel_hi:[1,1,0]
	v_pk_fma_f32 v[8:9], v[10:11], v[86:87], v[8:9] op_sel:[0,0,1] op_sel_hi:[1,0,0] neg_lo:[0,0,1] neg_hi:[0,0,1]
	v_pk_fma_f32 v[4:5], v[4:5], 2.0, v[16:17] op_sel_hi:[1,0,1] neg_lo:[0,0,1] neg_hi:[0,0,1]
	v_mov_b32_e32 v8, v89
	v_mov_b32_e32 v19, v9
	v_pk_mul_f32 v[8:9], v[14:15], v[8:9] op_sel_hi:[1,0]
	s_nop 0
	v_pk_fma_f32 v[10:11], v[14:15], v[88:89], v[8:9] op_sel:[0,0,1] op_sel_hi:[1,1,0]
	v_pk_fma_f32 v[8:9], v[14:15], v[88:89], v[8:9] op_sel:[0,0,1] op_sel_hi:[1,0,0] neg_lo:[0,0,1] neg_hi:[0,0,1]
	s_nop 0
	v_mov_b32_e32 v11, v9
	v_pk_mul_f32 v[8:9], v[6:7], v[98:99] op_sel:[0,1]
	s_nop 0
	v_pk_fma_f32 v[14:15], v[6:7], v[98:99], v[8:9] op_sel:[0,0,1] op_sel_hi:[1,1,0]
	v_pk_fma_f32 v[6:7], v[6:7], v[98:99], v[8:9] op_sel:[0,0,1] op_sel_hi:[1,0,0] neg_lo:[0,0,1] neg_hi:[0,0,1]
	s_nop 0
	v_mov_b32_e32 v15, v7
	v_pk_add_f32 v[6:7], v[2:3], v[10:11] neg_lo:[0,1] neg_hi:[0,1]
	v_pk_add_f32 v[8:9], v[18:19], v[14:15] neg_lo:[0,1] neg_hi:[0,1]
	v_pk_fma_f32 v[2:3], v[2:3], 2.0, v[6:7] op_sel_hi:[1,0,1] neg_lo:[0,0,1] neg_hi:[0,0,1]
	v_pk_fma_f32 v[10:11], v[18:19], 2.0, v[8:9] op_sel_hi:[1,0,1] neg_lo:[0,0,1] neg_hi:[0,0,1]
	s_nop 0
	v_pk_add_f32 v[10:11], v[2:3], v[10:11] neg_lo:[0,1] neg_hi:[0,1]
	s_nop 0
	v_pk_fma_f32 v[2:3], v[2:3], 2.0, v[10:11] op_sel_hi:[1,0,1] neg_lo:[0,0,1] neg_hi:[0,0,1]
	ds_write2_b64 v104, v[0:1], v[2:3] offset0:80 offset1:132
	v_pk_add_f32 v[0:1], v[6:7], v[8:9] op_sel:[0,1] op_sel_hi:[1,0]
	v_pk_add_f32 v[2:3], v[6:7], v[8:9] op_sel:[0,1] op_sel_hi:[1,0] neg_lo:[0,1] neg_hi:[0,1]
	s_nop 0
	v_mov_b32_e32 v1, v3
	v_pk_fma_f32 v[2:3], v[6:7], 2.0, v[0:1] op_sel_hi:[1,0,1] neg_lo:[0,0,1] neg_hi:[0,0,1]
	ds_write2_b64 v51, v[4:5], v[2:3] offset0:34 offset1:86
	ds_write2_b64 v103, v[12:13], v[10:11] offset0:116 offset1:168
	;; [unrolled: 1-line block ×3, first 2 shown]
	s_and_saveexec_b64 s[2:3], vcc
	s_cbranch_execz .LBB0_23
; %bb.22:
	v_mul_i32_i24_e32 v0, 3, v100
	v_mov_b32_e32 v1, 0
	v_lshl_add_u64 v[4:5], v[0:1], 3, s[8:9]
	global_load_dwordx4 v[0:3], v[4:5], off offset:2688
	global_load_dwordx2 v[6:7], v[4:5], off offset:2704
	v_mov_b32_e32 v4, v63
	v_mov_b32_e32 v8, v59
	v_mov_b32_e32 v10, v61
	s_waitcnt vmcnt(1)
	v_pk_mul_f32 v[4:5], v[4:5], v[2:3] op_sel_hi:[0,1]
	v_pk_mul_f32 v[8:9], v[8:9], v[0:1] op_sel_hi:[0,1]
	s_waitcnt vmcnt(0)
	v_pk_mul_f32 v[10:11], v[10:11], v[6:7] op_sel_hi:[0,1]
	v_pk_fma_f32 v[12:13], v[62:63], v[2:3], v[4:5] op_sel:[0,0,1] op_sel_hi:[1,1,0]
	v_pk_fma_f32 v[2:3], v[62:63], v[2:3], v[4:5] op_sel:[0,0,1] op_sel_hi:[0,1,0] neg_lo:[1,0,0] neg_hi:[1,0,0]
	v_pk_fma_f32 v[4:5], v[58:59], v[0:1], v[8:9] op_sel:[0,0,1] op_sel_hi:[1,1,0]
	v_pk_fma_f32 v[0:1], v[58:59], v[0:1], v[8:9] op_sel:[0,0,1] op_sel_hi:[0,1,0] neg_lo:[1,0,0] neg_hi:[1,0,0]
	;; [unrolled: 2-line block ×3, first 2 shown]
	v_mov_b32_e32 v13, v3
	v_mov_b32_e32 v5, v1
	;; [unrolled: 1-line block ×3, first 2 shown]
	v_pk_add_f32 v[0:1], v[56:57], v[12:13] neg_lo:[0,1] neg_hi:[0,1]
	v_pk_add_f32 v[2:3], v[4:5], v[8:9] neg_lo:[0,1] neg_hi:[0,1]
	v_pk_fma_f32 v[6:7], v[56:57], 2.0, v[0:1] op_sel_hi:[1,0,1] neg_lo:[0,0,1] neg_hi:[0,0,1]
	v_pk_fma_f32 v[4:5], v[4:5], 2.0, v[2:3] op_sel_hi:[1,0,1] neg_lo:[0,0,1] neg_hi:[0,0,1]
	v_pk_add_f32 v[8:9], v[0:1], v[2:3] op_sel:[0,1] op_sel_hi:[1,0]
	v_pk_add_f32 v[2:3], v[0:1], v[2:3] op_sel:[0,1] op_sel_hi:[1,0] neg_lo:[0,1] neg_hi:[0,1]
	v_pk_add_f32 v[4:5], v[6:7], v[4:5] neg_lo:[0,1] neg_hi:[0,1]
	v_mov_b32_e32 v9, v3
	v_pk_fma_f32 v[2:3], v[6:7], 2.0, v[4:5] op_sel_hi:[1,0,1] neg_lo:[0,0,1] neg_hi:[0,0,1]
	v_pk_fma_f32 v[0:1], v[0:1], 2.0, v[8:9] op_sel_hi:[1,0,1] neg_lo:[0,0,1] neg_hi:[0,0,1]
	ds_write_b64 v102, v[4:5] offset:7904
	ds_write_b64 v102, v[2:3] offset:2496
	;; [unrolled: 1-line block ×4, first 2 shown]
.LBB0_23:
	s_or_b64 exec, exec, s[2:3]
	s_waitcnt lgkmcnt(0)
	; wave barrier
	s_waitcnt lgkmcnt(0)
	s_and_saveexec_b64 s[2:3], s[0:1]
	s_cbranch_execz .LBB0_25
; %bb.24:
	v_mul_lo_u32 v0, s11, v52
	v_mul_lo_u32 v1, s10, v53
	v_mad_u64_u32 v[4:5], s[0:1], s10, v52, 0
	v_lshl_add_u32 v10, v50, 3, 0
	v_add3_u32 v5, v5, v1, v0
	ds_read2_b64 v[0:3], v10 offset1:52
	v_lshl_add_u64 v[4:5], v[4:5], 3, s[6:7]
	v_mov_b32_e32 v51, 0
	v_lshl_add_u64 v[8:9], v[48:49], 3, v[4:5]
	v_lshl_add_u64 v[4:5], v[50:51], 3, v[8:9]
	s_waitcnt lgkmcnt(0)
	global_store_dwordx2 v[4:5], v[0:1], off
	ds_read2_b64 v[4:7], v10 offset0:104 offset1:156
	v_add_u32_e32 v0, 52, v50
	v_mov_b32_e32 v1, v51
	v_lshl_add_u64 v[0:1], v[0:1], 3, v[8:9]
	global_store_dwordx2 v[0:1], v[2:3], off
	v_add_u32_e32 v0, 0x68, v50
	v_mov_b32_e32 v1, v51
	v_lshl_add_u64 v[0:1], v[0:1], 3, v[8:9]
	s_waitcnt lgkmcnt(0)
	global_store_dwordx2 v[0:1], v[4:5], off
	v_add_u32_e32 v0, 0x9c, v50
	v_mov_b32_e32 v1, v51
	v_lshl_add_u64 v[4:5], v[0:1], 3, v[8:9]
	v_add_u32_e32 v0, 0x400, v10
	ds_read2_b64 v[0:3], v0 offset0:80 offset1:132
	global_store_dwordx2 v[4:5], v[6:7], off
	v_add_u32_e32 v4, 0xd0, v50
	v_mov_b32_e32 v5, v51
	v_lshl_add_u64 v[4:5], v[4:5], 3, v[8:9]
	v_add_u32_e32 v11, 0x800, v10
	s_waitcnt lgkmcnt(0)
	global_store_dwordx2 v[4:5], v[0:1], off
	ds_read2_b64 v[4:7], v11 offset0:56 offset1:108
	v_add_u32_e32 v0, 0x104, v50
	v_mov_b32_e32 v1, v51
	v_lshl_add_u64 v[0:1], v[0:1], 3, v[8:9]
	global_store_dwordx2 v[0:1], v[2:3], off
	v_add_u32_e32 v0, 0x138, v50
	v_mov_b32_e32 v1, v51
	v_lshl_add_u64 v[0:1], v[0:1], 3, v[8:9]
	s_waitcnt lgkmcnt(0)
	global_store_dwordx2 v[0:1], v[4:5], off
	v_add_u32_e32 v0, 0x16c, v50
	v_mov_b32_e32 v1, v51
	v_lshl_add_u64 v[4:5], v[0:1], 3, v[8:9]
	ds_read2_b64 v[0:3], v11 offset0:160 offset1:212
	global_store_dwordx2 v[4:5], v[6:7], off
	v_add_u32_e32 v4, 0x1a0, v50
	v_mov_b32_e32 v5, v51
	v_lshl_add_u64 v[4:5], v[4:5], 3, v[8:9]
	v_add_u32_e32 v11, 0x1000, v10
	s_waitcnt lgkmcnt(0)
	global_store_dwordx2 v[4:5], v[0:1], off
	ds_read2_b64 v[4:7], v11 offset0:8 offset1:60
	v_add_u32_e32 v0, 0x1d4, v50
	v_mov_b32_e32 v1, v51
	v_lshl_add_u64 v[0:1], v[0:1], 3, v[8:9]
	global_store_dwordx2 v[0:1], v[2:3], off
	v_add_u32_e32 v0, 0x208, v50
	v_mov_b32_e32 v1, v51
	v_lshl_add_u64 v[0:1], v[0:1], 3, v[8:9]
	s_waitcnt lgkmcnt(0)
	global_store_dwordx2 v[0:1], v[4:5], off
	v_add_u32_e32 v0, 0x23c, v50
	v_mov_b32_e32 v1, v51
	v_lshl_add_u64 v[4:5], v[0:1], 3, v[8:9]
	ds_read2_b64 v[0:3], v11 offset0:112 offset1:164
	global_store_dwordx2 v[4:5], v[6:7], off
	v_add_u32_e32 v4, 0x270, v50
	v_mov_b32_e32 v5, v51
	v_lshl_add_u64 v[4:5], v[4:5], 3, v[8:9]
	s_waitcnt lgkmcnt(0)
	global_store_dwordx2 v[4:5], v[0:1], off
	v_add_u32_e32 v4, 0x1400, v10
	ds_read2_b64 v[4:7], v4 offset0:88 offset1:140
	v_add_u32_e32 v0, 0x2a4, v50
	v_mov_b32_e32 v1, v51
	v_lshl_add_u64 v[0:1], v[0:1], 3, v[8:9]
	global_store_dwordx2 v[0:1], v[2:3], off
	v_add_u32_e32 v0, 0x2d8, v50
	v_mov_b32_e32 v1, v51
	v_lshl_add_u64 v[0:1], v[0:1], 3, v[8:9]
	s_waitcnt lgkmcnt(0)
	global_store_dwordx2 v[0:1], v[4:5], off
	v_add_u32_e32 v0, 0x30c, v50
	v_mov_b32_e32 v1, v51
	v_add_u32_e32 v11, 0x1800, v10
	v_lshl_add_u64 v[4:5], v[0:1], 3, v[8:9]
	ds_read2_b64 v[0:3], v11 offset0:64 offset1:116
	global_store_dwordx2 v[4:5], v[6:7], off
	v_add_u32_e32 v4, 0x340, v50
	v_mov_b32_e32 v5, v51
	v_lshl_add_u64 v[4:5], v[4:5], 3, v[8:9]
	s_waitcnt lgkmcnt(0)
	global_store_dwordx2 v[4:5], v[0:1], off
	ds_read2_b64 v[4:7], v11 offset0:168 offset1:220
	v_add_u32_e32 v0, 0x374, v50
	v_mov_b32_e32 v1, v51
	v_lshl_add_u64 v[0:1], v[0:1], 3, v[8:9]
	global_store_dwordx2 v[0:1], v[2:3], off
	v_add_u32_e32 v0, 0x3a8, v50
	v_mov_b32_e32 v1, v51
	v_lshl_add_u64 v[0:1], v[0:1], 3, v[8:9]
	s_waitcnt lgkmcnt(0)
	global_store_dwordx2 v[0:1], v[4:5], off
	v_add_u32_e32 v0, 0x3dc, v50
	v_mov_b32_e32 v1, v51
	v_add_u32_e32 v11, 0x2000, v10
	v_lshl_add_u64 v[4:5], v[0:1], 3, v[8:9]
	ds_read2_b64 v[0:3], v11 offset0:16 offset1:68
	global_store_dwordx2 v[4:5], v[6:7], off
	v_add_u32_e32 v4, 0x410, v50
	v_mov_b32_e32 v5, v51
	v_lshl_add_u64 v[4:5], v[4:5], 3, v[8:9]
	s_waitcnt lgkmcnt(0)
	global_store_dwordx2 v[4:5], v[0:1], off
	ds_read2_b64 v[4:7], v11 offset0:120 offset1:172
	v_add_u32_e32 v0, 0x444, v50
	v_mov_b32_e32 v1, v51
	v_lshl_add_u64 v[0:1], v[0:1], 3, v[8:9]
	global_store_dwordx2 v[0:1], v[2:3], off
	v_add_u32_e32 v0, 0x478, v50
	v_mov_b32_e32 v1, v51
	v_lshl_add_u64 v[0:1], v[0:1], 3, v[8:9]
	s_waitcnt lgkmcnt(0)
	global_store_dwordx2 v[0:1], v[4:5], off
	v_add_u32_e32 v0, 0x4ac, v50
	v_mov_b32_e32 v1, v51
	v_lshl_add_u64 v[4:5], v[0:1], 3, v[8:9]
	v_add_u32_e32 v0, 0x2400, v10
	ds_read2_b64 v[0:3], v0 offset0:96 offset1:148
	global_store_dwordx2 v[4:5], v[6:7], off
	v_add_u32_e32 v4, 0x4e0, v50
	v_mov_b32_e32 v5, v51
	v_lshl_add_u64 v[4:5], v[4:5], 3, v[8:9]
	v_add_u32_e32 v50, 0x514, v50
	s_waitcnt lgkmcnt(0)
	global_store_dwordx2 v[4:5], v[0:1], off
	v_lshl_add_u64 v[0:1], v[50:51], 3, v[8:9]
	global_store_dwordx2 v[0:1], v[2:3], off
.LBB0_25:
	s_endpgm
	.section	.rodata,"a",@progbits
	.p2align	6, 0x0
	.amdhsa_kernel fft_rtc_back_len1352_factors_2_13_13_4_wgs_52_tpt_52_halfLds_sp_op_CI_CI_unitstride_sbrr_C2R_dirReg
		.amdhsa_group_segment_fixed_size 0
		.amdhsa_private_segment_fixed_size 0
		.amdhsa_kernarg_size 104
		.amdhsa_user_sgpr_count 2
		.amdhsa_user_sgpr_dispatch_ptr 0
		.amdhsa_user_sgpr_queue_ptr 0
		.amdhsa_user_sgpr_kernarg_segment_ptr 1
		.amdhsa_user_sgpr_dispatch_id 0
		.amdhsa_user_sgpr_kernarg_preload_length 0
		.amdhsa_user_sgpr_kernarg_preload_offset 0
		.amdhsa_user_sgpr_private_segment_size 0
		.amdhsa_uses_dynamic_stack 0
		.amdhsa_enable_private_segment 0
		.amdhsa_system_sgpr_workgroup_id_x 1
		.amdhsa_system_sgpr_workgroup_id_y 0
		.amdhsa_system_sgpr_workgroup_id_z 0
		.amdhsa_system_sgpr_workgroup_info 0
		.amdhsa_system_vgpr_workitem_id 0
		.amdhsa_next_free_vgpr 218
		.amdhsa_next_free_sgpr 50
		.amdhsa_accum_offset 220
		.amdhsa_reserve_vcc 1
		.amdhsa_float_round_mode_32 0
		.amdhsa_float_round_mode_16_64 0
		.amdhsa_float_denorm_mode_32 3
		.amdhsa_float_denorm_mode_16_64 3
		.amdhsa_dx10_clamp 1
		.amdhsa_ieee_mode 1
		.amdhsa_fp16_overflow 0
		.amdhsa_tg_split 0
		.amdhsa_exception_fp_ieee_invalid_op 0
		.amdhsa_exception_fp_denorm_src 0
		.amdhsa_exception_fp_ieee_div_zero 0
		.amdhsa_exception_fp_ieee_overflow 0
		.amdhsa_exception_fp_ieee_underflow 0
		.amdhsa_exception_fp_ieee_inexact 0
		.amdhsa_exception_int_div_zero 0
	.end_amdhsa_kernel
	.text
.Lfunc_end0:
	.size	fft_rtc_back_len1352_factors_2_13_13_4_wgs_52_tpt_52_halfLds_sp_op_CI_CI_unitstride_sbrr_C2R_dirReg, .Lfunc_end0-fft_rtc_back_len1352_factors_2_13_13_4_wgs_52_tpt_52_halfLds_sp_op_CI_CI_unitstride_sbrr_C2R_dirReg
                                        ; -- End function
	.section	.AMDGPU.csdata,"",@progbits
; Kernel info:
; codeLenInByte = 18616
; NumSgprs: 56
; NumVgprs: 218
; NumAgprs: 0
; TotalNumVgprs: 218
; ScratchSize: 0
; MemoryBound: 0
; FloatMode: 240
; IeeeMode: 1
; LDSByteSize: 0 bytes/workgroup (compile time only)
; SGPRBlocks: 6
; VGPRBlocks: 27
; NumSGPRsForWavesPerEU: 56
; NumVGPRsForWavesPerEU: 218
; AccumOffset: 220
; Occupancy: 2
; WaveLimiterHint : 1
; COMPUTE_PGM_RSRC2:SCRATCH_EN: 0
; COMPUTE_PGM_RSRC2:USER_SGPR: 2
; COMPUTE_PGM_RSRC2:TRAP_HANDLER: 0
; COMPUTE_PGM_RSRC2:TGID_X_EN: 1
; COMPUTE_PGM_RSRC2:TGID_Y_EN: 0
; COMPUTE_PGM_RSRC2:TGID_Z_EN: 0
; COMPUTE_PGM_RSRC2:TIDIG_COMP_CNT: 0
; COMPUTE_PGM_RSRC3_GFX90A:ACCUM_OFFSET: 54
; COMPUTE_PGM_RSRC3_GFX90A:TG_SPLIT: 0
	.text
	.p2alignl 6, 3212836864
	.fill 256, 4, 3212836864
	.type	__hip_cuid_a359cf12ef679630,@object ; @__hip_cuid_a359cf12ef679630
	.section	.bss,"aw",@nobits
	.globl	__hip_cuid_a359cf12ef679630
__hip_cuid_a359cf12ef679630:
	.byte	0                               ; 0x0
	.size	__hip_cuid_a359cf12ef679630, 1

	.ident	"AMD clang version 19.0.0git (https://github.com/RadeonOpenCompute/llvm-project roc-6.4.0 25133 c7fe45cf4b819c5991fe208aaa96edf142730f1d)"
	.section	".note.GNU-stack","",@progbits
	.addrsig
	.addrsig_sym __hip_cuid_a359cf12ef679630
	.amdgpu_metadata
---
amdhsa.kernels:
  - .agpr_count:     0
    .args:
      - .actual_access:  read_only
        .address_space:  global
        .offset:         0
        .size:           8
        .value_kind:     global_buffer
      - .offset:         8
        .size:           8
        .value_kind:     by_value
      - .actual_access:  read_only
        .address_space:  global
        .offset:         16
        .size:           8
        .value_kind:     global_buffer
      - .actual_access:  read_only
        .address_space:  global
        .offset:         24
        .size:           8
        .value_kind:     global_buffer
      - .actual_access:  read_only
        .address_space:  global
        .offset:         32
        .size:           8
        .value_kind:     global_buffer
      - .offset:         40
        .size:           8
        .value_kind:     by_value
      - .actual_access:  read_only
        .address_space:  global
        .offset:         48
        .size:           8
        .value_kind:     global_buffer
      - .actual_access:  read_only
        .address_space:  global
        .offset:         56
        .size:           8
        .value_kind:     global_buffer
      - .offset:         64
        .size:           4
        .value_kind:     by_value
      - .actual_access:  read_only
        .address_space:  global
        .offset:         72
        .size:           8
        .value_kind:     global_buffer
      - .actual_access:  read_only
        .address_space:  global
        .offset:         80
        .size:           8
        .value_kind:     global_buffer
      - .actual_access:  read_only
        .address_space:  global
        .offset:         88
        .size:           8
        .value_kind:     global_buffer
      - .actual_access:  write_only
        .address_space:  global
        .offset:         96
        .size:           8
        .value_kind:     global_buffer
    .group_segment_fixed_size: 0
    .kernarg_segment_align: 8
    .kernarg_segment_size: 104
    .language:       OpenCL C
    .language_version:
      - 2
      - 0
    .max_flat_workgroup_size: 52
    .name:           fft_rtc_back_len1352_factors_2_13_13_4_wgs_52_tpt_52_halfLds_sp_op_CI_CI_unitstride_sbrr_C2R_dirReg
    .private_segment_fixed_size: 0
    .sgpr_count:     56
    .sgpr_spill_count: 0
    .symbol:         fft_rtc_back_len1352_factors_2_13_13_4_wgs_52_tpt_52_halfLds_sp_op_CI_CI_unitstride_sbrr_C2R_dirReg.kd
    .uniform_work_group_size: 1
    .uses_dynamic_stack: false
    .vgpr_count:     218
    .vgpr_spill_count: 0
    .wavefront_size: 64
amdhsa.target:   amdgcn-amd-amdhsa--gfx950
amdhsa.version:
  - 1
  - 2
...

	.end_amdgpu_metadata
